;; amdgpu-corpus repo=ROCm/rocFFT kind=compiled arch=gfx950 opt=O3
	.text
	.amdgcn_target "amdgcn-amd-amdhsa--gfx950"
	.amdhsa_code_object_version 6
	.protected	fft_rtc_fwd_len80_factors_2_2_4_5_wgs_125_tpt_5_dim3_sp_ip_CI_sbcc_twdbase8_3step_dirReg ; -- Begin function fft_rtc_fwd_len80_factors_2_2_4_5_wgs_125_tpt_5_dim3_sp_ip_CI_sbcc_twdbase8_3step_dirReg
	.globl	fft_rtc_fwd_len80_factors_2_2_4_5_wgs_125_tpt_5_dim3_sp_ip_CI_sbcc_twdbase8_3step_dirReg
	.p2align	8
	.type	fft_rtc_fwd_len80_factors_2_2_4_5_wgs_125_tpt_5_dim3_sp_ip_CI_sbcc_twdbase8_3step_dirReg,@function
fft_rtc_fwd_len80_factors_2_2_4_5_wgs_125_tpt_5_dim3_sp_ip_CI_sbcc_twdbase8_3step_dirReg: ; @fft_rtc_fwd_len80_factors_2_2_4_5_wgs_125_tpt_5_dim3_sp_ip_CI_sbcc_twdbase8_3step_dirReg
; %bb.0:
	s_load_dwordx4 s[4:7], s[0:1], 0x10
	s_mov_b32 s3, 0
	s_mov_b64 s[20:21], 0
	s_waitcnt lgkmcnt(0)
	s_load_dwordx2 s[10:11], s[4:5], 0x8
	s_waitcnt lgkmcnt(0)
	s_add_u32 s8, s10, -1
	s_addc_u32 s9, s11, -1
	s_add_u32 s12, 0, 0xd7093700
	s_addc_u32 s13, 0, 51
	s_mul_hi_u32 s15, s12, 0xffffffe7
	s_add_i32 s13, s13, 0xa3d7070
	s_sub_i32 s15, s15, s12
	s_mul_i32 s18, s13, 0xffffffe7
	s_mul_i32 s14, s12, 0xffffffe7
	s_add_i32 s15, s15, s18
	s_mul_hi_u32 s16, s13, s14
	s_mul_i32 s17, s13, s14
	s_mul_i32 s19, s12, s15
	s_mul_hi_u32 s14, s12, s14
	s_mul_hi_u32 s18, s12, s15
	s_add_u32 s14, s14, s19
	s_addc_u32 s18, 0, s18
	s_add_u32 s14, s14, s17
	s_mul_hi_u32 s19, s13, s15
	s_addc_u32 s14, s18, s16
	s_addc_u32 s16, s19, 0
	s_mul_i32 s15, s13, s15
	s_add_u32 s14, s14, s15
	v_mov_b32_e32 v1, s14
	s_addc_u32 s15, 0, s16
	v_add_co_u32_e32 v1, vcc, s12, v1
	s_cmp_lg_u64 vcc, 0
	s_addc_u32 s12, s13, s15
	v_readfirstlane_b32 s15, v1
	s_mul_i32 s14, s8, s12
	s_mul_hi_u32 s16, s8, s15
	s_mul_hi_u32 s13, s8, s12
	s_add_u32 s14, s16, s14
	s_addc_u32 s13, 0, s13
	s_mul_hi_u32 s17, s9, s15
	s_mul_i32 s15, s9, s15
	s_add_u32 s14, s14, s15
	s_mul_hi_u32 s16, s9, s12
	s_addc_u32 s13, s13, s17
	s_addc_u32 s14, s16, 0
	s_mul_i32 s12, s9, s12
	s_add_u32 s12, s13, s12
	s_addc_u32 s13, 0, s14
	s_add_u32 s14, s12, 1
	s_addc_u32 s15, s13, 0
	s_add_u32 s16, s12, 2
	s_mul_i32 s18, s13, 25
	s_mul_hi_u32 s19, s12, 25
	s_addc_u32 s17, s13, 0
	s_add_i32 s19, s19, s18
	s_mul_i32 s18, s12, 25
	v_mov_b32_e32 v1, s18
	v_sub_co_u32_e32 v1, vcc, s8, v1
	s_cmp_lg_u64 vcc, 0
	s_subb_u32 s8, s9, s19
	v_subrev_co_u32_e32 v2, vcc, 25, v1
	s_cmp_lg_u64 vcc, 0
	s_subb_u32 s9, s8, 0
	v_readfirstlane_b32 s18, v2
	s_cmp_gt_u32 s18, 24
	s_cselect_b32 s18, -1, 0
	s_cmp_eq_u32 s9, 0
	s_cselect_b32 s9, s18, -1
	s_cmp_lg_u32 s9, 0
	s_cselect_b32 s9, s16, s14
	s_cselect_b32 s14, s17, s15
	v_readfirstlane_b32 s15, v1
	s_cmp_gt_u32 s15, 24
	s_cselect_b32 s15, -1, 0
	s_cmp_eq_u32 s8, 0
	s_cselect_b32 s8, s15, -1
	s_cmp_lg_u32 s8, 0
	s_cselect_b32 s9, s9, s12
	s_cselect_b32 s8, s14, s13
	s_add_u32 s18, s9, 1
	s_addc_u32 s19, s8, 0
	v_mov_b64_e32 v[2:3], s[18:19]
	v_cmp_lt_u64_e32 vcc, s[2:3], v[2:3]
	s_cbranch_vccnz .LBB0_2
; %bb.1:
	v_cvt_f32_u32_e32 v1, s18
	s_sub_i32 s8, 0, s18
	s_mov_b32 s21, s3
	v_rcp_iflag_f32_e32 v1, v1
	s_nop 0
	v_mul_f32_e32 v1, 0x4f7ffffe, v1
	v_cvt_u32_f32_e32 v1, v1
	s_nop 0
	v_readfirstlane_b32 s9, v1
	s_mul_i32 s8, s8, s9
	s_mul_hi_u32 s8, s9, s8
	s_add_i32 s9, s9, s8
	s_mul_hi_u32 s8, s2, s9
	s_mul_i32 s12, s8, s18
	s_sub_i32 s12, s2, s12
	s_add_i32 s9, s8, 1
	s_sub_i32 s13, s12, s18
	s_cmp_ge_u32 s12, s18
	s_cselect_b32 s8, s9, s8
	s_cselect_b32 s12, s13, s12
	s_add_i32 s9, s8, 1
	s_cmp_ge_u32 s12, s18
	s_cselect_b32 s20, s9, s8
.LBB0_2:
	s_load_dwordx2 s[8:9], s[4:5], 0x10
	s_load_dwordx2 s[12:13], s[6:7], 0x8
	s_mov_b64 s[4:5], s[20:21]
	s_waitcnt lgkmcnt(0)
	v_mov_b64_e32 v[2:3], s[8:9]
	v_cmp_lt_u64_e32 vcc, s[20:21], v[2:3]
	s_cbranch_vccnz .LBB0_4
; %bb.3:
	v_cvt_f32_u32_e32 v1, s8
	s_sub_i32 s4, 0, s8
	v_rcp_iflag_f32_e32 v1, v1
	s_nop 0
	v_mul_f32_e32 v1, 0x4f7ffffe, v1
	v_cvt_u32_f32_e32 v1, v1
	s_nop 0
	v_readfirstlane_b32 s5, v1
	s_mul_i32 s4, s4, s5
	s_mul_hi_u32 s4, s5, s4
	s_add_i32 s5, s5, s4
	s_mul_hi_u32 s4, s20, s5
	s_mul_i32 s4, s4, s8
	s_sub_i32 s4, s20, s4
	s_sub_i32 s5, s4, s8
	s_cmp_ge_u32 s4, s8
	s_cselect_b32 s4, s5, s4
	s_sub_i32 s5, s4, s8
	s_cmp_ge_u32 s4, s8
	s_cselect_b32 s4, s5, s4
.LBB0_4:
	s_mul_i32 s5, s8, s19
	s_mul_hi_u32 s16, s8, s18
	s_add_i32 s5, s16, s5
	s_mul_i32 s9, s9, s18
	s_load_dwordx2 s[14:15], s[0:1], 0x50
	s_add_i32 s17, s5, s9
	s_mul_i32 s16, s8, s18
	s_load_dwordx2 s[8:9], s[6:7], 0x0
	s_load_dwordx2 s[22:23], s[6:7], 0x10
	v_mov_b64_e32 v[2:3], s[16:17]
	v_cmp_lt_u64_e32 vcc, s[2:3], v[2:3]
	s_mov_b64 s[24:25], 0
	s_cbranch_vccnz .LBB0_6
; %bb.5:
	v_cvt_f32_u32_e32 v1, s16
	s_sub_i32 s3, 0, s16
	v_rcp_iflag_f32_e32 v1, v1
	s_nop 0
	v_mul_f32_e32 v1, 0x4f7ffffe, v1
	v_cvt_u32_f32_e32 v1, v1
	s_nop 0
	v_readfirstlane_b32 s5, v1
	s_mul_i32 s3, s3, s5
	s_mul_hi_u32 s3, s5, s3
	s_add_i32 s5, s5, s3
	s_mul_hi_u32 s3, s2, s5
	s_mul_i32 s17, s3, s16
	s_sub_i32 s17, s2, s17
	s_add_i32 s5, s3, 1
	s_sub_i32 s21, s17, s16
	s_cmp_ge_u32 s17, s16
	s_cselect_b32 s3, s5, s3
	s_cselect_b32 s17, s21, s17
	s_add_i32 s5, s3, 1
	s_cmp_ge_u32 s17, s16
	s_cselect_b32 s24, s5, s3
.LBB0_6:
	s_mul_i32 s3, s20, s19
	s_mul_hi_u32 s5, s20, s18
	s_add_i32 s5, s5, s3
	s_mul_i32 s3, s20, s18
	s_sub_u32 s18, s2, s3
	s_subb_u32 s2, 0, s5
	s_mul_i32 s5, s2, 25
	s_mul_hi_u32 s2, s18, 25
	s_add_i32 s19, s2, s5
	s_mul_i32 s20, s18, 25
	s_mul_i32 s2, s12, s19
	s_mul_hi_u32 s3, s12, s20
	s_add_i32 s2, s3, s2
	s_mul_i32 s3, s13, s20
	s_add_i32 s21, s2, s3
	s_load_dwordx2 s[2:3], s[6:7], 0x18
	s_waitcnt lgkmcnt(0)
	s_mul_i32 s23, s23, s4
	s_mul_hi_u32 s26, s22, s4
	s_mul_i32 s25, s12, s20
	s_add_i32 s26, s26, s23
	s_mul_i32 s4, s22, s4
	s_add_u32 s4, s4, s25
	s_mul_i32 s3, s3, s24
	s_mul_hi_u32 s6, s2, s24
	v_mul_u32_u24_e32 v1, 0xa3e, v0
	s_addc_u32 s7, s26, s21
	s_add_i32 s3, s6, s3
	s_mul_i32 s2, s2, s24
	v_lshrrev_b32_e32 v110, 16, v1
	s_add_u32 s6, s2, s4
	v_mul_lo_u16_e32 v1, 25, v110
	s_load_dwordx2 s[16:17], s[0:1], 0x0
	s_addc_u32 s7, s3, s7
	v_sub_u16_e32 v50, v0, v1
	v_mov_b32_e32 v51, 0
	v_mad_u64_u32 v[52:53], s[2:3], s18, 25, v[50:51]
	s_add_u32 s4, s20, 25
	v_add_u32_e32 v53, s5, v53
	s_addc_u32 s5, s19, 0
	v_mov_b64_e32 v[2:3], s[10:11]
	v_cmp_gt_u64_e32 vcc, s[4:5], v[2:3]
	v_cmp_le_u64_e64 s[2:3], s[4:5], v[2:3]
	s_and_b64 vcc, exec, vcc
	v_add_u32_e32 v37, 5, v110
	v_add_u32_e32 v38, 10, v110
	;; [unrolled: 1-line block ×7, first 2 shown]
	s_cbranch_vccnz .LBB0_8
; %bb.7:
	v_mad_u64_u32 v[2:3], s[4:5], s12, v50, 0
	v_mov_b32_e32 v4, v3
	v_mad_u64_u32 v[4:5], s[4:5], s13, v50, v[4:5]
	v_mov_b32_e32 v3, v4
	;; [unrolled: 2-line block ×3, first 2 shown]
	v_mad_u64_u32 v[6:7], s[4:5], s9, v110, v[6:7]
	s_lshl_b64 s[4:5], s[6:7], 3
	s_add_u32 s4, s14, s4
	s_addc_u32 s5, s15, s5
	v_or_b32_e32 v1, 40, v110
	v_mov_b32_e32 v5, v6
	v_lshl_add_u64 v[26:27], v[2:3], 3, s[4:5]
	v_mad_u64_u32 v[2:3], s[4:5], s8, v1, 0
	v_lshl_add_u64 v[10:11], v[4:5], 3, v[26:27]
	v_mov_b32_e32 v4, v3
	v_mad_u64_u32 v[4:5], s[4:5], s9, v1, v[4:5]
	v_mov_b32_e32 v3, v4
	v_add_u32_e32 v111, 5, v110
	v_lshl_add_u64 v[12:13], v[2:3], 3, v[26:27]
	v_mad_u64_u32 v[2:3], s[4:5], s8, v111, 0
	v_mov_b32_e32 v4, v3
	v_mad_u64_u32 v[4:5], s[4:5], s9, v111, v[4:5]
	v_mov_b32_e32 v3, v4
	v_add_u32_e32 v1, 45, v110
	v_lshl_add_u64 v[14:15], v[2:3], 3, v[26:27]
	v_mad_u64_u32 v[2:3], s[4:5], s8, v1, 0
	v_mov_b32_e32 v4, v3
	v_mad_u64_u32 v[4:5], s[4:5], s9, v1, v[4:5]
	v_mov_b32_e32 v3, v4
	v_add_u32_e32 v51, 10, v110
	v_lshl_add_u64 v[16:17], v[2:3], 3, v[26:27]
	global_load_dwordx2 v[2:3], v[10:11], off
	global_load_dwordx2 v[6:7], v[12:13], off
	global_load_dwordx2 v[4:5], v[14:15], off
	global_load_dwordx2 v[8:9], v[16:17], off
	v_mad_u64_u32 v[10:11], s[4:5], s8, v51, 0
	v_mov_b32_e32 v12, v11
	v_mad_u64_u32 v[12:13], s[4:5], s9, v51, v[12:13]
	v_mov_b32_e32 v11, v12
	v_add_u32_e32 v1, 50, v110
	v_lshl_add_u64 v[18:19], v[10:11], 3, v[26:27]
	v_mad_u64_u32 v[10:11], s[4:5], s8, v1, 0
	v_mov_b32_e32 v12, v11
	v_mad_u64_u32 v[12:13], s[4:5], s9, v1, v[12:13]
	v_mov_b32_e32 v11, v12
	v_add_u32_e32 v112, 15, v110
	v_lshl_add_u64 v[20:21], v[10:11], 3, v[26:27]
	v_mad_u64_u32 v[10:11], s[4:5], s8, v112, 0
	v_mov_b32_e32 v12, v11
	v_mad_u64_u32 v[12:13], s[4:5], s9, v112, v[12:13]
	v_mov_b32_e32 v11, v12
	v_add_u32_e32 v1, 55, v110
	v_lshl_add_u64 v[22:23], v[10:11], 3, v[26:27]
	v_mad_u64_u32 v[10:11], s[4:5], s8, v1, 0
	v_mov_b32_e32 v12, v11
	v_mad_u64_u32 v[12:13], s[4:5], s9, v1, v[12:13]
	v_mov_b32_e32 v11, v12
	v_add_u32_e32 v1, 20, v110
	v_lshl_add_u64 v[24:25], v[10:11], 3, v[26:27]
	global_load_dwordx2 v[10:11], v[18:19], off
	global_load_dwordx2 v[14:15], v[20:21], off
	global_load_dwordx2 v[12:13], v[22:23], off
	global_load_dwordx2 v[16:17], v[24:25], off
	v_mad_u64_u32 v[18:19], s[4:5], s8, v1, 0
	v_mov_b32_e32 v20, v19
	v_mad_u64_u32 v[20:21], s[4:5], s9, v1, v[20:21]
	v_mov_b32_e32 v19, v20
	v_add_u32_e32 v21, 60, v110
	v_lshl_add_u64 v[28:29], v[18:19], 3, v[26:27]
	v_mad_u64_u32 v[18:19], s[4:5], s8, v21, 0
	;; [unrolled: 28-line block ×3, first 2 shown]
	v_mov_b32_e32 v30, v29
	v_mad_u64_u32 v[30:31], s[4:5], s9, v31, v[30:31]
	v_mov_b32_e32 v29, v30
	v_add_u32_e32 v36, 35, v110
	v_lshl_add_u64 v[46:47], v[28:29], 3, v[26:27]
	v_mad_u64_u32 v[28:29], s[4:5], s8, v36, 0
	v_mov_b32_e32 v30, v29
	v_mad_u64_u32 v[30:31], s[4:5], s9, v36, v[30:31]
	v_mov_b32_e32 v29, v30
	v_add_u32_e32 v31, 0x4b, v110
	v_lshl_add_u64 v[48:49], v[28:29], 3, v[26:27]
	v_mad_u64_u32 v[28:29], s[4:5], s8, v31, 0
	v_mov_b32_e32 v30, v29
	v_mad_u64_u32 v[30:31], s[4:5], s9, v31, v[30:31]
	v_mov_b32_e32 v29, v30
	v_lshl_add_u64 v[54:55], v[28:29], 3, v[26:27]
	global_load_dwordx2 v[26:27], v[44:45], off
	global_load_dwordx2 v[30:31], v[46:47], off
	global_load_dwordx2 v[28:29], v[48:49], off
	global_load_dwordx2 v[32:33], v[54:55], off
	s_cbranch_execz .LBB0_9
	s_branch .LBB0_14
.LBB0_8:
                                        ; implicit-def: $vgpr7
                                        ; implicit-def: $vgpr3
                                        ; implicit-def: $vgpr9
                                        ; implicit-def: $vgpr5
                                        ; implicit-def: $vgpr15
                                        ; implicit-def: $vgpr11
                                        ; implicit-def: $vgpr17
                                        ; implicit-def: $vgpr13
                                        ; implicit-def: $vgpr23
                                        ; implicit-def: $vgpr19
                                        ; implicit-def: $vgpr25
                                        ; implicit-def: $vgpr21
                                        ; implicit-def: $vgpr31
                                        ; implicit-def: $vgpr27
                                        ; implicit-def: $vgpr33
                                        ; implicit-def: $vgpr29
                                        ; implicit-def: $vgpr111
                                        ; implicit-def: $vgpr51
                                        ; implicit-def: $vgpr112
                                        ; implicit-def: $vgpr1
                                        ; implicit-def: $vgpr34
                                        ; implicit-def: $vgpr35
                                        ; implicit-def: $vgpr36
.LBB0_9:
	v_cmp_le_u64_e32 vcc, s[10:11], v[52:53]
                                        ; implicit-def: $vgpr111
                                        ; implicit-def: $vgpr51
                                        ; implicit-def: $vgpr112
                                        ; implicit-def: $vgpr1
                                        ; implicit-def: $vgpr34
                                        ; implicit-def: $vgpr35
                                        ; implicit-def: $vgpr36
	s_and_saveexec_b64 s[4:5], vcc
	s_xor_b64 s[4:5], exec, s[4:5]
; %bb.10:
	v_add_u32_e32 v111, 5, v110
	v_add_u32_e32 v51, 10, v110
	v_add_u32_e32 v112, 15, v110
	v_add_u32_e32 v1, 20, v110
	v_add_u32_e32 v34, 25, v110
	v_add_u32_e32 v35, 30, v110
	v_add_u32_e32 v36, 35, v110
                                        ; implicit-def: $vgpr37
                                        ; implicit-def: $vgpr38
                                        ; implicit-def: $vgpr39
                                        ; implicit-def: $vgpr40
                                        ; implicit-def: $vgpr41
                                        ; implicit-def: $vgpr42
                                        ; implicit-def: $vgpr43
; %bb.11:
	s_or_saveexec_b64 s[4:5], s[4:5]
                                        ; implicit-def: $vgpr7
                                        ; implicit-def: $vgpr3
                                        ; implicit-def: $vgpr9
                                        ; implicit-def: $vgpr5
                                        ; implicit-def: $vgpr15
                                        ; implicit-def: $vgpr11
                                        ; implicit-def: $vgpr17
                                        ; implicit-def: $vgpr13
                                        ; implicit-def: $vgpr23
                                        ; implicit-def: $vgpr19
                                        ; implicit-def: $vgpr25
                                        ; implicit-def: $vgpr21
                                        ; implicit-def: $vgpr31
                                        ; implicit-def: $vgpr27
                                        ; implicit-def: $vgpr33
                                        ; implicit-def: $vgpr29
	s_xor_b64 exec, exec, s[4:5]
	s_cbranch_execz .LBB0_13
; %bb.12:
	s_waitcnt vmcnt(15)
	v_mad_u64_u32 v[2:3], s[18:19], s12, v50, 0
	s_waitcnt vmcnt(13)
	v_mov_b32_e32 v4, v3
	v_mad_u64_u32 v[4:5], s[18:19], s13, v50, v[4:5]
	v_mov_b32_e32 v3, v4
	v_mad_u64_u32 v[4:5], s[18:19], s8, v110, 0
	;; [unrolled: 2-line block ×3, first 2 shown]
	s_lshl_b64 s[18:19], s[6:7], 3
	s_add_u32 s18, s14, s18
	s_addc_u32 s19, s15, s19
	v_or_b32_e32 v1, 40, v110
	v_mov_b32_e32 v5, v6
	s_waitcnt vmcnt(3)
	v_lshl_add_u64 v[26:27], v[2:3], 3, s[18:19]
	v_mad_u64_u32 v[2:3], s[18:19], s8, v1, 0
	v_lshl_add_u64 v[10:11], v[4:5], 3, v[26:27]
	v_mov_b32_e32 v4, v3
	v_mad_u64_u32 v[4:5], s[18:19], s9, v1, v[4:5]
	v_mov_b32_e32 v3, v4
	v_lshl_add_u64 v[12:13], v[2:3], 3, v[26:27]
	v_mad_u64_u32 v[2:3], s[18:19], s8, v37, 0
	v_mov_b32_e32 v4, v3
	v_mad_u64_u32 v[4:5], s[18:19], s9, v37, v[4:5]
	v_mov_b32_e32 v3, v4
	v_add_u32_e32 v1, 45, v110
	v_lshl_add_u64 v[14:15], v[2:3], 3, v[26:27]
	v_mad_u64_u32 v[2:3], s[18:19], s8, v1, 0
	v_mov_b32_e32 v4, v3
	v_mad_u64_u32 v[4:5], s[18:19], s9, v1, v[4:5]
	v_mov_b32_e32 v3, v4
	v_lshl_add_u64 v[16:17], v[2:3], 3, v[26:27]
	global_load_dwordx2 v[2:3], v[10:11], off
	global_load_dwordx2 v[6:7], v[12:13], off
	;; [unrolled: 1-line block ×4, first 2 shown]
	v_mad_u64_u32 v[10:11], s[18:19], s8, v38, 0
	v_mov_b32_e32 v12, v11
	v_mad_u64_u32 v[12:13], s[18:19], s9, v38, v[12:13]
	v_mov_b32_e32 v11, v12
	v_add_u32_e32 v1, 50, v110
	v_lshl_add_u64 v[18:19], v[10:11], 3, v[26:27]
	v_mad_u64_u32 v[10:11], s[18:19], s8, v1, 0
	v_mov_b32_e32 v12, v11
	v_mad_u64_u32 v[12:13], s[18:19], s9, v1, v[12:13]
	v_mov_b32_e32 v11, v12
	v_lshl_add_u64 v[20:21], v[10:11], 3, v[26:27]
	v_mad_u64_u32 v[10:11], s[18:19], s8, v39, 0
	v_mov_b32_e32 v12, v11
	v_mad_u64_u32 v[12:13], s[18:19], s9, v39, v[12:13]
	v_mov_b32_e32 v11, v12
	v_add_u32_e32 v1, 55, v110
	v_lshl_add_u64 v[22:23], v[10:11], 3, v[26:27]
	v_mad_u64_u32 v[10:11], s[18:19], s8, v1, 0
	v_mov_b32_e32 v12, v11
	v_mad_u64_u32 v[12:13], s[18:19], s9, v1, v[12:13]
	v_mov_b32_e32 v11, v12
	v_lshl_add_u64 v[24:25], v[10:11], 3, v[26:27]
	global_load_dwordx2 v[10:11], v[18:19], off
	global_load_dwordx2 v[14:15], v[20:21], off
	;; [unrolled: 1-line block ×4, first 2 shown]
	v_mad_u64_u32 v[18:19], s[18:19], s8, v40, 0
	v_mov_b32_e32 v20, v19
	v_mad_u64_u32 v[20:21], s[18:19], s9, v40, v[20:21]
	v_mov_b32_e32 v19, v20
	v_add_u32_e32 v1, 60, v110
	s_waitcnt vmcnt(9)
	v_lshl_add_u64 v[28:29], v[18:19], 3, v[26:27]
	v_mad_u64_u32 v[18:19], s[18:19], s8, v1, 0
	v_mov_b32_e32 v20, v19
	v_mad_u64_u32 v[20:21], s[18:19], s9, v1, v[20:21]
	v_mov_b32_e32 v19, v20
	v_lshl_add_u64 v[30:31], v[18:19], 3, v[26:27]
	v_mad_u64_u32 v[18:19], s[18:19], s8, v41, 0
	v_mov_b32_e32 v20, v19
	v_mad_u64_u32 v[20:21], s[18:19], s9, v41, v[20:21]
	v_mov_b32_e32 v19, v20
	v_add_u32_e32 v1, 0x41, v110
	s_waitcnt vmcnt(8)
	v_lshl_add_u64 v[32:33], v[18:19], 3, v[26:27]
	v_mad_u64_u32 v[18:19], s[18:19], s8, v1, 0
	v_mov_b32_e32 v20, v19
	v_mad_u64_u32 v[20:21], s[18:19], s9, v1, v[20:21]
	v_mov_b32_e32 v19, v20
	v_lshl_add_u64 v[34:35], v[18:19], 3, v[26:27]
	global_load_dwordx2 v[18:19], v[28:29], off
	global_load_dwordx2 v[22:23], v[30:31], off
	;; [unrolled: 1-line block ×4, first 2 shown]
	v_mad_u64_u32 v[28:29], s[18:19], s8, v42, 0
	v_mov_b32_e32 v30, v29
	v_mad_u64_u32 v[30:31], s[18:19], s9, v42, v[30:31]
	v_mov_b32_e32 v29, v30
	v_add_u32_e32 v1, 0x46, v110
	v_lshl_add_u64 v[34:35], v[28:29], 3, v[26:27]
	v_mad_u64_u32 v[28:29], s[18:19], s8, v1, 0
	v_mov_b32_e32 v30, v29
	v_mad_u64_u32 v[30:31], s[18:19], s9, v1, v[30:31]
	v_mov_b32_e32 v29, v30
	v_lshl_add_u64 v[44:45], v[28:29], 3, v[26:27]
	v_mad_u64_u32 v[28:29], s[18:19], s8, v43, 0
	v_mov_b32_e32 v30, v29
	v_mad_u64_u32 v[30:31], s[18:19], s9, v43, v[30:31]
	v_mov_b32_e32 v29, v30
	v_add_u32_e32 v1, 0x4b, v110
	v_lshl_add_u64 v[46:47], v[28:29], 3, v[26:27]
	v_mad_u64_u32 v[28:29], s[18:19], s8, v1, 0
	v_mov_b32_e32 v30, v29
	v_mad_u64_u32 v[30:31], s[18:19], s9, v1, v[30:31]
	v_mov_b32_e32 v29, v30
	v_lshl_add_u64 v[48:49], v[28:29], 3, v[26:27]
	global_load_dwordx2 v[26:27], v[34:35], off
	global_load_dwordx2 v[30:31], v[44:45], off
	;; [unrolled: 1-line block ×4, first 2 shown]
	v_mov_b32_e32 v111, v37
	v_mov_b32_e32 v51, v38
	;; [unrolled: 1-line block ×7, first 2 shown]
.LBB0_13:
	s_or_b64 exec, exec, s[4:5]
.LBB0_14:
	s_waitcnt vmcnt(14)
	v_pk_add_f32 v[38:39], v[2:3], v[6:7] neg_lo:[0,1] neg_hi:[0,1]
	v_mul_u32_u24_e32 v7, 0x190, v110
	v_lshlrev_b32_e32 v6, 3, v50
	v_add3_u32 v7, 0, v7, v6
	v_pk_fma_f32 v[2:3], v[2:3], 2.0, v[38:39] op_sel_hi:[1,0,1] neg_lo:[0,0,1] neg_hi:[0,0,1]
	s_waitcnt vmcnt(12)
	v_pk_add_f32 v[8:9], v[4:5], v[8:9] neg_lo:[0,1] neg_hi:[0,1]
	ds_write2_b64 v7, v[2:3], v[38:39] offset1:25
	v_mul_i32_i24_e32 v2, 0x190, v111
	v_add3_u32 v7, 0, v2, v6
	v_pk_fma_f32 v[2:3], v[4:5], 2.0, v[8:9] op_sel_hi:[1,0,1] neg_lo:[0,0,1] neg_hi:[0,0,1]
	s_waitcnt vmcnt(10)
	v_pk_add_f32 v[14:15], v[10:11], v[14:15] neg_lo:[0,1] neg_hi:[0,1]
	ds_write2_b64 v7, v[2:3], v[8:9] offset1:25
	v_mul_i32_i24_e32 v2, 0x190, v51
	;; [unrolled: 6-line block ×7, first 2 shown]
	v_add3_u32 v4, 0, v2, v6
	v_pk_fma_f32 v[2:3], v[28:29], 2.0, v[32:33] op_sel_hi:[1,0,1] neg_lo:[0,0,1] neg_hi:[0,0,1]
	v_and_b32_e32 v5, 1, v36
	ds_write2_b64 v4, v[2:3], v[32:33] offset1:25
	v_lshlrev_b32_e32 v2, 3, v5
	s_waitcnt lgkmcnt(0)
	s_barrier
	global_load_dwordx2 v[20:21], v2, s[16:17]
	v_and_b32_e32 v7, 1, v34
	v_lshlrev_b32_e32 v2, 3, v7
	global_load_dwordx2 v[22:23], v2, s[16:17]
	v_and_b32_e32 v37, 1, v110
	v_lshlrev_b32_e32 v2, 3, v37
	;; [unrolled: 3-line block ×4, first 2 shown]
	global_load_dwordx2 v[32:33], v2, s[16:17]
	v_mul_u32_u24_e32 v2, 0xc8, v110
	v_mul_i32_i24_e32 v3, 0xc8, v111
	v_mul_i32_i24_e32 v8, 0xc8, v112
	v_add3_u32 v28, 0, v2, v6
	v_add3_u32 v29, 0, v3, v6
	v_mul_i32_i24_e32 v4, 0xc8, v51
	v_mul_i32_i24_e32 v9, 0xc8, v1
	v_add3_u32 v26, 0, v8, v6
	v_add_u32_e32 v2, 0x1c00, v28
	ds_read_b64 v[38:39], v29
	ds_read_b64 v[40:41], v28 offset:15000
	ds_read_b64 v[42:43], v28
	ds_read_b64 v[44:45], v26
	v_add3_u32 v27, 0, v4, v6
	v_add3_u32 v66, 0, v9, v6
	v_add_u32_e32 v3, 0x2400, v28
	v_add_u32_e32 v4, 0x2c00, v28
	;; [unrolled: 1-line block ×3, first 2 shown]
	ds_read2_b64 v[8:11], v2 offset0:104 offset1:229
	ds_read2_b64 v[12:15], v3 offset0:98 offset1:223
	ds_read2_b64 v[16:19], v58 offset0:89 offset1:214
	ds_read2_b32 v[46:47], v4 offset0:184 offset1:185
	s_movk_i32 s4, 0x3ffc
	v_lshlrev_b32_e32 v1, 1, v1
	v_and_or_b32 v1, v1, s4, v37
	v_mul_u32_u24_e32 v1, 0xc8, v1
	v_add3_u32 v1, 0, v1, v6
	v_and_b32_e32 v76, 3, v112
	v_lshlrev_b32_e32 v113, 2, v51
	v_lshlrev_b32_e32 v114, 2, v111
	s_waitcnt vmcnt(4) lgkmcnt(6)
	v_pk_mul_f32 v[48:49], v[40:41], v[20:21] op_sel:[0,1]
	s_nop 0
	v_pk_fma_f32 v[54:55], v[40:41], v[20:21], v[48:49] op_sel:[0,0,1] op_sel_hi:[1,1,0] neg_lo:[0,0,1] neg_hi:[0,0,1]
	v_pk_fma_f32 v[20:21], v[40:41], v[20:21], v[48:49] op_sel:[0,0,1] op_sel_hi:[1,0,0]
	s_nop 0
	v_mov_b32_e32 v55, v21
	s_waitcnt vmcnt(3) lgkmcnt(1)
	v_pk_mul_f32 v[20:21], v[16:17], v[22:23] op_sel:[0,1]
	s_nop 0
	v_pk_fma_f32 v[40:41], v[16:17], v[22:23], v[20:21] op_sel:[0,0,1] op_sel_hi:[1,1,0] neg_lo:[0,0,1] neg_hi:[0,0,1]
	v_pk_fma_f32 v[16:17], v[16:17], v[22:23], v[20:21] op_sel:[0,0,1] op_sel_hi:[1,0,0]
	s_nop 0
	v_mov_b32_e32 v41, v17
	s_waitcnt vmcnt(2)
	v_pk_mul_f32 v[16:17], v[18:19], v[24:25] op_sel:[0,1]
	s_nop 0
	v_pk_fma_f32 v[20:21], v[18:19], v[24:25], v[16:17] op_sel:[0,0,1] op_sel_hi:[1,1,0] neg_lo:[0,0,1] neg_hi:[0,0,1]
	v_pk_fma_f32 v[16:17], v[18:19], v[24:25], v[16:17] op_sel:[0,0,1] op_sel_hi:[1,0,0]
	s_waitcnt lgkmcnt(0)
	v_mov_b32_e32 v16, v47
	v_pk_mul_f32 v[18:19], v[16:17], v[24:25] op_sel_hi:[0,1]
	v_mul_i32_i24_e32 v16, 0xc8, v34
	v_pk_fma_f32 v[22:23], v[24:25], v[46:47], v[18:19] op_sel:[0,0,1] op_sel_hi:[1,1,0] neg_lo:[0,0,1] neg_hi:[0,0,1]
	v_pk_fma_f32 v[18:19], v[24:25], v[46:47], v[18:19] op_sel:[0,0,1] op_sel_hi:[1,0,0]
	v_add3_u32 v46, 0, v16, v6
	v_mul_i32_i24_e32 v16, 0xc8, v35
	v_add3_u32 v47, 0, v16, v6
	v_mov_b32_e32 v21, v17
	s_waitcnt vmcnt(1)
	v_pk_mul_f32 v[16:17], v[30:31], v[14:15] op_sel:[0,1]
	v_mov_b32_e32 v23, v19
	v_pk_fma_f32 v[18:19], v[30:31], v[14:15], v[16:17] op_sel:[0,0,1] op_sel_hi:[1,1,0] neg_lo:[0,0,1] neg_hi:[0,0,1]
	v_pk_fma_f32 v[14:15], v[30:31], v[14:15], v[16:17] op_sel:[0,0,1] op_sel_hi:[1,0,0]
	s_nop 0
	v_mov_b32_e32 v19, v15
	v_pk_mul_f32 v[14:15], v[24:25], v[12:13] op_sel:[0,1]
	v_pk_add_f32 v[18:19], v[44:45], v[18:19] neg_lo:[0,1] neg_hi:[0,1]
	v_pk_fma_f32 v[16:17], v[24:25], v[12:13], v[14:15] op_sel:[0,0,1] op_sel_hi:[1,1,0] neg_lo:[0,0,1] neg_hi:[0,0,1]
	v_pk_fma_f32 v[12:13], v[24:25], v[12:13], v[14:15] op_sel:[0,0,1] op_sel_hi:[1,0,0]
	v_pk_fma_f32 v[44:45], v[44:45], 2.0, v[18:19] op_sel_hi:[1,0,1] neg_lo:[0,0,1] neg_hi:[0,0,1]
	v_mov_b32_e32 v17, v13
	s_waitcnt vmcnt(0)
	v_pk_mul_f32 v[12:13], v[32:33], v[10:11] op_sel:[0,1]
	s_nop 0
	v_pk_fma_f32 v[14:15], v[32:33], v[10:11], v[12:13] op_sel:[0,0,1] op_sel_hi:[1,1,0] neg_lo:[0,0,1] neg_hi:[0,0,1]
	v_pk_fma_f32 v[10:11], v[32:33], v[10:11], v[12:13] op_sel:[0,0,1] op_sel_hi:[1,0,0]
	v_pk_mul_f32 v[12:13], v[24:25], v[8:9] op_sel:[0,1]
	v_lshlrev_b32_e32 v10, 1, v111
	v_pk_fma_f32 v[30:31], v[24:25], v[8:9], v[12:13] op_sel:[0,0,1] op_sel_hi:[1,1,0] neg_lo:[0,0,1] neg_hi:[0,0,1]
	v_pk_fma_f32 v[8:9], v[24:25], v[8:9], v[12:13] op_sel:[0,0,1] op_sel_hi:[1,0,0]
	v_and_or_b32 v31, v10, s4, v57
	v_lshlrev_b32_e32 v10, 1, v112
	v_and_or_b32 v48, v10, s4, v56
	v_lshlrev_b32_e32 v10, 1, v110
	;; [unrolled: 2-line block ×3, first 2 shown]
	v_mul_i32_i24_e32 v8, 0xc8, v36
	v_and_or_b32 v7, v10, s4, v7
	v_lshlrev_b32_e32 v10, 1, v51
	v_add3_u32 v8, 0, v8, v6
	v_and_or_b32 v34, v10, s4, v37
	v_lshlrev_b32_e32 v10, 1, v35
	ds_read_b64 v[12:13], v27
	ds_read_b64 v[24:25], v66
	;; [unrolled: 1-line block ×4, first 2 shown]
	v_mov_b32_e32 v15, v11
	v_and_or_b32 v35, v10, s4, v37
	ds_read_b64 v[10:11], v8
	v_mul_u32_u24_e32 v8, 0xc8, v49
	v_add3_u32 v49, 0, v8, v6
	v_mul_u32_u24_e32 v8, 0xc8, v31
	v_add3_u32 v56, 0, v8, v6
	v_mul_u32_u24_e32 v8, 0xc8, v34
	v_add3_u32 v57, 0, v8, v6
	v_mul_u32_u24_e32 v8, 0xc8, v48
	v_add3_u32 v48, 0, v8, v6
	v_mul_u32_u24_e32 v8, 0xc8, v35
	v_add3_u32 v59, 0, v8, v6
	v_lshlrev_b32_e32 v8, 1, v36
	v_mov_b32_e32 v31, v9
	v_and_or_b32 v5, v8, s4, v5
	v_pk_add_f32 v[8:9], v[42:43], v[30:31] neg_lo:[0,1] neg_hi:[0,1]
	v_mul_u32_u24_e32 v7, 0xc8, v7
	v_mul_u32_u24_e32 v5, 0xc8, v5
	s_waitcnt lgkmcnt(0)
	v_pk_add_f32 v[34:35], v[10:11], v[54:55] neg_lo:[0,1] neg_hi:[0,1]
	v_pk_add_f32 v[36:37], v[32:33], v[40:41] neg_lo:[0,1] neg_hi:[0,1]
	;; [unrolled: 1-line block ×6, first 2 shown]
	v_pk_fma_f32 v[30:31], v[42:43], 2.0, v[8:9] op_sel_hi:[1,0,1] neg_lo:[0,0,1] neg_hi:[0,0,1]
	v_add3_u32 v7, 0, v7, v6
	v_add3_u32 v5, 0, v5, v6
	v_pk_fma_f32 v[10:11], v[10:11], 2.0, v[34:35] op_sel_hi:[1,0,1] neg_lo:[0,0,1] neg_hi:[0,0,1]
	v_pk_fma_f32 v[32:33], v[32:33], 2.0, v[36:37] op_sel_hi:[1,0,1] neg_lo:[0,0,1] neg_hi:[0,0,1]
	;; [unrolled: 1-line block ×6, first 2 shown]
	s_barrier
	ds_write2_b64 v49, v[30:31], v[8:9] offset1:50
	ds_write2_b64 v56, v[38:39], v[14:15] offset1:50
	;; [unrolled: 1-line block ×8, first 2 shown]
	v_and_b32_e32 v1, 3, v51
	v_mul_u32_u24_e32 v5, 3, v1
	v_lshlrev_b32_e32 v5, 3, v5
	s_waitcnt lgkmcnt(0)
	s_barrier
	global_load_dwordx4 v[8:11], v5, s[16:17] offset:16
	v_and_b32_e32 v7, 3, v111
	v_mul_u32_u24_e32 v12, 3, v7
	v_lshlrev_b32_e32 v16, 3, v12
	global_load_dwordx4 v[12:15], v16, s[16:17] offset:16
	global_load_dwordx2 v[24:25], v5, s[16:17] offset:32
	global_load_dwordx2 v[46:47], v16, s[16:17] offset:32
	v_and_b32_e32 v5, 3, v110
	v_mul_u32_u24_e32 v5, 3, v5
	v_lshlrev_b32_e32 v5, 3, v5
	global_load_dwordx4 v[16:19], v5, s[16:17] offset:16
	v_mul_u32_u24_e32 v20, 3, v76
	v_lshlrev_b32_e32 v30, 3, v20
	global_load_dwordx4 v[20:23], v30, s[16:17] offset:16
	global_load_dwordx2 v[48:49], v5, s[16:17] offset:32
	global_load_dwordx2 v[54:55], v30, s[16:17] offset:32
	v_add_u32_e32 v30, 0x1000, v28
	v_add_u32_e32 v5, 0x1800, v28
	ds_read2_b64 v[30:33], v30 offset0:113 offset1:238
	ds_read2_b64 v[34:37], v5 offset0:107 offset1:232
	v_add_u32_e32 v5, 0x2000, v28
	ds_read2_b64 v[38:41], v5 offset0:101 offset1:226
	ds_read2_b64 v[42:45], v58 offset0:89 offset1:214
	v_add_u32_e32 v5, 0x2800, v28
	s_movk_i32 s4, 0x7ff0
	v_and_or_b32 v1, v113, s4, v1
	v_and_or_b32 v7, v114, s4, v7
	v_mul_u32_u24_e32 v1, 0xc8, v1
	v_mul_u32_u24_e32 v7, 0xc8, v7
	s_waitcnt vmcnt(7) lgkmcnt(3)
	v_pk_mul_f32 v[56:57], v[32:33], v[8:9] op_sel:[0,1]
	s_nop 0
	v_pk_fma_f32 v[58:59], v[32:33], v[8:9], v[56:57] op_sel:[0,0,1] op_sel_hi:[1,1,0] neg_lo:[0,0,1] neg_hi:[0,0,1]
	v_pk_fma_f32 v[32:33], v[32:33], v[8:9], v[56:57] op_sel:[0,0,1] op_sel_hi:[1,0,0]
	v_mov_b32_e32 v8, v11
	s_waitcnt lgkmcnt(1)
	v_pk_mul_f32 v[8:9], v[40:41], v[8:9] op_sel_hi:[1,0]
	v_mov_b32_e32 v59, v33
	v_pk_fma_f32 v[60:61], v[40:41], v[10:11], v[8:9] op_sel:[0,0,1] op_sel_hi:[1,1,0] neg_lo:[0,0,1] neg_hi:[0,0,1]
	v_pk_fma_f32 v[40:41], v[40:41], v[10:11], v[8:9] op_sel:[0,0,1] op_sel_hi:[1,0,0]
	s_waitcnt vmcnt(6)
	v_pk_mul_f32 v[8:9], v[12:13], v[30:31] op_sel:[0,1]
	s_waitcnt vmcnt(5) lgkmcnt(0)
	v_pk_mul_f32 v[10:11], v[44:45], v[24:25] op_sel:[0,1]
	v_pk_fma_f32 v[62:63], v[12:13], v[30:31], v[8:9] op_sel:[0,0,1] op_sel_hi:[1,1,0] neg_lo:[0,0,1] neg_hi:[0,0,1]
	v_pk_fma_f32 v[12:13], v[12:13], v[30:31], v[8:9] op_sel:[0,0,1] op_sel_hi:[1,0,0]
	v_mov_b32_e32 v8, v15
	v_pk_mul_f32 v[8:9], v[38:39], v[8:9] op_sel_hi:[1,0]
	s_waitcnt vmcnt(2)
	v_mov_b32_e32 v12, v23
	v_pk_fma_f32 v[64:65], v[38:39], v[14:15], v[8:9] op_sel:[0,0,1] op_sel_hi:[1,1,0] neg_lo:[0,0,1] neg_hi:[0,0,1]
	v_pk_fma_f32 v[14:15], v[38:39], v[14:15], v[8:9] op_sel:[0,0,1] op_sel_hi:[1,0,0]
	ds_read_b64 v[8:9], v66
	ds_read_b64 v[38:39], v27
	v_pk_fma_f32 v[66:67], v[44:45], v[24:25], v[10:11] op_sel:[0,0,1] op_sel_hi:[1,1,0] neg_lo:[0,0,1] neg_hi:[0,0,1]
	v_pk_fma_f32 v[24:25], v[44:45], v[24:25], v[10:11] op_sel:[0,0,1] op_sel_hi:[1,0,0]
	v_pk_mul_f32 v[10:11], v[42:43], v[46:47] op_sel:[0,1]
	ds_read_b64 v[68:69], v28 offset:15000
	v_pk_fma_f32 v[44:45], v[42:43], v[46:47], v[10:11] op_sel:[0,0,1] op_sel_hi:[1,1,0] neg_lo:[0,0,1] neg_hi:[0,0,1]
	v_pk_fma_f32 v[30:31], v[42:43], v[46:47], v[10:11] op_sel:[0,0,1] op_sel_hi:[1,0,0]
	s_waitcnt lgkmcnt(2)
	v_pk_mul_f32 v[10:11], v[16:17], v[8:9] op_sel:[0,1]
	v_lshlrev_b32_e32 v30, 2, v110
	v_pk_fma_f32 v[42:43], v[16:17], v[8:9], v[10:11] op_sel:[0,0,1] op_sel_hi:[1,1,0] neg_lo:[0,0,1] neg_hi:[0,0,1]
	v_pk_fma_f32 v[16:17], v[16:17], v[8:9], v[10:11] op_sel:[0,0,1] op_sel_hi:[1,0,0]
	v_pk_mul_f32 v[8:9], v[18:19], v[36:37] op_sel:[0,1]
	s_waitcnt vmcnt(0) lgkmcnt(0)
	v_pk_mul_f32 v[72:73], v[68:69], v[54:55] op_sel:[0,1]
	v_pk_fma_f32 v[46:47], v[18:19], v[36:37], v[8:9] op_sel:[0,0,1] op_sel_hi:[1,1,0] neg_lo:[0,0,1] neg_hi:[0,0,1]
	v_pk_fma_f32 v[18:19], v[18:19], v[36:37], v[8:9] op_sel:[0,0,1] op_sel_hi:[1,0,0]
	ds_read2_b64 v[8:11], v5 offset0:95 offset1:220
	v_pk_mul_f32 v[36:37], v[34:35], v[20:21] op_sel:[0,1]
	v_mov_b32_e32 v43, v17
	v_pk_fma_f32 v[56:57], v[34:35], v[20:21], v[36:37] op_sel:[1,0,0] op_sel_hi:[0,1,1]
	v_pk_fma_f32 v[20:21], v[34:35], v[20:21], v[36:37] op_sel:[1,0,0] op_sel_hi:[0,0,1] neg_lo:[0,0,1] neg_hi:[0,0,1]
	s_waitcnt lgkmcnt(0)
	v_pk_mul_f32 v[34:35], v[8:9], v[12:13] op_sel_hi:[1,0]
	v_mov_b32_e32 v47, v19
	v_pk_fma_f32 v[36:37], v[8:9], v[22:23], v[34:35] op_sel:[0,0,1] op_sel_hi:[1,1,0] neg_lo:[0,0,1] neg_hi:[0,0,1]
	v_pk_fma_f32 v[8:9], v[8:9], v[22:23], v[34:35] op_sel:[0,0,1] op_sel_hi:[1,0,0]
	v_pk_mul_f32 v[22:23], v[48:49], v[10:11] op_sel:[0,1]
	v_pk_fma_f32 v[74:75], v[68:69], v[54:55], v[72:73] op_sel:[1,0,0] op_sel_hi:[0,1,1]
	v_pk_fma_f32 v[34:35], v[48:49], v[10:11], v[22:23] op_sel:[0,0,1] op_sel_hi:[1,1,0] neg_lo:[0,0,1] neg_hi:[0,0,1]
	v_pk_fma_f32 v[10:11], v[48:49], v[10:11], v[22:23] op_sel:[0,0,1] op_sel_hi:[1,0,0]
	ds_read_b64 v[22:23], v26
	ds_read_b64 v[48:49], v29
	;; [unrolled: 1-line block ×3, first 2 shown]
	v_mov_b32_e32 v35, v11
	v_pk_fma_f32 v[54:55], v[68:69], v[54:55], v[72:73] op_sel:[1,0,0] op_sel_hi:[0,0,1] neg_lo:[0,0,1] neg_hi:[0,0,1]
	v_add3_u32 v69, 0, v1, v6
	v_lshlrev_b32_e32 v1, 2, v112
	s_waitcnt lgkmcnt(0)
	v_pk_add_f32 v[10:11], v[70:71], v[46:47] neg_lo:[0,1] neg_hi:[0,1]
	v_pk_add_f32 v[34:35], v[42:43], v[34:35] neg_lo:[0,1] neg_hi:[0,1]
	v_mov_b32_e32 v61, v41
	v_bitop3_b32 v5, v30, 19, v110 bitop3:0xc8
	v_add3_u32 v68, 0, v7, v6
	v_and_or_b32 v7, v1, s4, v76
	v_pk_fma_f32 v[18:19], v[70:71], 2.0, v[10:11] op_sel_hi:[1,0,1] neg_lo:[0,0,1] neg_hi:[0,0,1]
	v_pk_fma_f32 v[40:41], v[42:43], 2.0, v[34:35] op_sel_hi:[1,0,1] neg_lo:[0,0,1] neg_hi:[0,0,1]
	v_pk_add_f32 v[42:43], v[10:11], v[34:35] op_sel:[0,1] op_sel_hi:[1,0] neg_lo:[0,1] neg_hi:[0,1]
	v_pk_add_f32 v[34:35], v[10:11], v[34:35] op_sel:[0,1] op_sel_hi:[1,0]
	v_mov_b32_e32 v37, v9
	v_mul_u32_u24_e32 v5, 0xc8, v5
	v_mul_u32_u24_e32 v7, 0xc8, v7
	v_mov_b32_e32 v63, v13
	v_mov_b32_e32 v65, v15
	v_mov_b32_e32 v45, v31
	v_pk_add_f32 v[40:41], v[18:19], v[40:41] neg_lo:[0,1] neg_hi:[0,1]
	v_mov_b32_e32 v43, v35
	v_add3_u32 v5, 0, v5, v6
	v_mov_b32_e32 v67, v25
	v_add3_u32 v72, 0, v7, v6
	v_pk_add_f32 v[6:7], v[22:23], v[36:37] neg_lo:[0,1] neg_hi:[0,1]
	v_pk_add_f32 v[14:15], v[38:39], v[60:61] neg_lo:[0,1] neg_hi:[0,1]
	;; [unrolled: 1-line block ×4, first 2 shown]
	v_pk_fma_f32 v[18:19], v[18:19], 2.0, v[40:41] op_sel_hi:[1,0,1] neg_lo:[0,0,1] neg_hi:[0,0,1]
	v_pk_fma_f32 v[10:11], v[10:11], 2.0, v[42:43] op_sel_hi:[1,0,1] neg_lo:[0,0,1] neg_hi:[0,0,1]
	;; [unrolled: 1-line block ×5, first 2 shown]
	s_barrier
	ds_write2_b64 v5, v[18:19], v[10:11] offset1:100
	v_pk_add_f32 v[10:11], v[24:25], v[36:37] op_sel:[0,1] op_sel_hi:[1,0] neg_lo:[0,1] neg_hi:[0,1]
	v_pk_add_f32 v[18:19], v[24:25], v[36:37] op_sel:[0,1] op_sel_hi:[1,0]
	v_mov_b32_e32 v57, v21
	v_mov_b32_e32 v75, v55
	v_pk_add_f32 v[38:39], v[32:33], v[38:39] neg_lo:[0,1] neg_hi:[0,1]
	v_add_u32_e32 v5, 0x400, v5
	v_mov_b32_e32 v11, v19
	v_pk_add_f32 v[8:9], v[56:57], v[74:75] neg_lo:[0,1] neg_hi:[0,1]
	v_pk_add_f32 v[20:21], v[58:59], v[66:67] neg_lo:[0,1] neg_hi:[0,1]
	v_pk_fma_f32 v[32:33], v[32:33], 2.0, v[38:39] op_sel_hi:[1,0,1] neg_lo:[0,0,1] neg_hi:[0,0,1]
	ds_write2_b64 v5, v[40:41], v[42:43] offset0:72 offset1:172
	v_pk_fma_f32 v[18:19], v[24:25], 2.0, v[10:11] op_sel_hi:[1,0,1] neg_lo:[0,0,1] neg_hi:[0,0,1]
	v_add_u32_e32 v5, 0x400, v68
	v_pk_add_f32 v[54:55], v[6:7], v[8:9] neg_lo:[0,1] neg_hi:[0,1]
	v_pk_fma_f32 v[12:13], v[56:57], 2.0, v[8:9] op_sel_hi:[1,0,1] neg_lo:[0,0,1] neg_hi:[0,0,1]
	v_pk_add_f32 v[56:57], v[6:7], v[8:9]
	v_pk_fma_f32 v[8:9], v[22:23], 2.0, v[6:7] op_sel_hi:[1,0,1] neg_lo:[0,0,1] neg_hi:[0,0,1]
	v_pk_fma_f32 v[22:23], v[58:59], 2.0, v[20:21] op_sel_hi:[1,0,1] neg_lo:[0,0,1] neg_hi:[0,0,1]
	ds_write2_b64 v68, v[32:33], v[18:19] offset1:100
	ds_write2_b64 v5, v[38:39], v[10:11] offset0:72 offset1:172
	v_pk_add_f32 v[10:11], v[14:15], v[20:21] op_sel:[0,1] op_sel_hi:[1,0] neg_lo:[0,1] neg_hi:[0,1]
	v_pk_add_f32 v[18:19], v[14:15], v[20:21] op_sel:[0,1] op_sel_hi:[1,0]
	v_pk_add_f32 v[22:23], v[16:17], v[22:23] neg_lo:[0,1] neg_hi:[0,1]
	v_mov_b32_e32 v11, v19
	v_add_u32_e32 v5, 0x400, v69
	v_mov_b32_e32 v55, v57
	v_pk_add_f32 v[12:13], v[8:9], v[12:13] op_sel:[0,1] op_sel_hi:[1,0] neg_lo:[0,1] neg_hi:[0,1]
	v_pk_fma_f32 v[16:17], v[16:17], 2.0, v[22:23] op_sel_hi:[1,0,1] neg_lo:[0,0,1] neg_hi:[0,0,1]
	v_pk_fma_f32 v[14:15], v[14:15], 2.0, v[10:11] op_sel_hi:[1,0,1] neg_lo:[0,0,1] neg_hi:[0,0,1]
	ds_write2_b64 v5, v[22:23], v[10:11] offset0:72 offset1:172
	v_add_u32_e32 v5, 0x400, v72
	v_pk_fma_f32 v[8:9], v[8:9], 2.0, v[12:13] op_sel_hi:[1,0,1] neg_lo:[0,0,1] neg_hi:[0,0,1]
	ds_write2_b64 v69, v[16:17], v[14:15] offset1:100
	v_pk_fma_f32 v[6:7], v[6:7], 2.0, v[54:55] op_sel_hi:[1,0,1] neg_lo:[0,0,1] neg_hi:[0,0,1]
	ds_write2_b64 v5, v[12:13], v[54:55] offset0:72 offset1:172
	v_add_u32_e32 v5, 0xc00, v28
	ds_write2_b64 v72, v[8:9], v[6:7] offset1:100
	s_waitcnt lgkmcnt(0)
	s_barrier
	ds_read2_b64 v[18:21], v5 offset0:16 offset1:141
	v_add_u32_e32 v5, 0x1400, v28
	ds_read2_b64 v[14:17], v5 offset0:10 offset1:160
	ds_read2_b64 v[10:13], v3 offset0:48 offset1:173
	;; [unrolled: 1-line block ×4, first 2 shown]
	v_add_u32_e32 v2, 0x3400, v28
	ds_read2_b64 v[2:5], v2 offset0:61 offset1:186
	ds_read_b64 v[62:63], v28
	ds_read_b64 v[60:61], v29
	;; [unrolled: 1-line block ×3, first 2 shown]
	v_cmp_gt_u32_e64 s[4:5], 25, v0
                                        ; implicit-def: $vgpr64
                                        ; implicit-def: $vgpr56
                                        ; implicit-def: $vgpr66
                                        ; implicit-def: $vgpr68
                                        ; implicit-def: $vgpr70
                                        ; implicit-def: $vgpr74
                                        ; implicit-def: $vgpr72
                                        ; implicit-def: $vgpr0
	s_and_saveexec_b64 s[18:19], s[4:5]
	s_cbranch_execz .LBB0_16
; %bb.15:
	v_lshl_add_u32 v0, v50, 3, 0
	ds_read_b64 v[54:55], v26
	ds_read_b64 v[64:65], v0 offset:15800
	ds_read_b64 v[66:67], v0 offset:12600
	;; [unrolled: 1-line block ×4, first 2 shown]
	s_waitcnt lgkmcnt(3)
	v_mov_b32_e32 v56, v65
	s_waitcnt lgkmcnt(2)
	v_mov_b32_e32 v68, v67
	v_mov_b32_e32 v57, v55
	s_waitcnt lgkmcnt(1)
	v_mov_b32_e32 v74, v71
	s_waitcnt lgkmcnt(0)
	v_mov_b32_e32 v0, v73
.LBB0_16:
	s_or_b64 exec, exec, s[18:19]
	v_and_b32_e32 v26, 28, v30
	v_and_b32_e32 v30, 60, v114
	v_lshlrev_b32_e32 v55, 3, v26
	v_lshlrev_b32_e32 v65, 3, v30
	global_load_dwordx4 v[26:29], v55, s[16:17] offset:112
	global_load_dwordx4 v[30:33], v65, s[16:17] offset:112
	v_and_b32_e32 v34, 60, v113
	v_lshlrev_b32_e32 v67, 3, v34
	global_load_dwordx4 v[34:37], v67, s[16:17] offset:112
	global_load_dwordx4 v[38:41], v55, s[16:17] offset:128
	;; [unrolled: 1-line block ×4, first 2 shown]
	v_and_b32_e32 v1, 60, v1
	v_lshlrev_b32_e32 v1, 3, v1
	global_load_dwordx4 v[120:123], v1, s[16:17] offset:112
	global_load_dwordx4 v[124:127], v1, s[16:17] offset:128
	s_load_dwordx2 s[0:1], s[0:1], 0x8
	v_or_b32_e32 v115, 16, v110
	v_mov_b32_e32 v118, 3
	v_or_b32_e32 v116, 32, v110
	v_mul_lo_u32 v67, v52, v110
	v_mul_lo_u32 v65, v52, v115
	v_mov_b32_e32 v119, 0x1000
	v_mul_lo_u32 v55, v52, v116
	v_lshlrev_b32_sdwa v69, v118, v67 dst_sel:DWORD dst_unused:UNUSED_PAD src0_sel:DWORD src1_sel:BYTE_0
	v_lshlrev_b32_sdwa v71, v118, v67 dst_sel:DWORD dst_unused:UNUSED_PAD src0_sel:DWORD src1_sel:BYTE_1
	v_bfe_u32 v67, v67, 16, 8
	v_lshlrev_b32_sdwa v75, v118, v65 dst_sel:DWORD dst_unused:UNUSED_PAD src0_sel:DWORD src1_sel:BYTE_1
	v_lshlrev_b32_sdwa v1, v118, v65 dst_sel:DWORD dst_unused:UNUSED_PAD src0_sel:DWORD src1_sel:BYTE_0
	v_lshlrev_b32_sdwa v76, v118, v55 dst_sel:DWORD dst_unused:UNUSED_PAD src0_sel:DWORD src1_sel:BYTE_0
	v_lshlrev_b32_sdwa v77, v118, v55 dst_sel:DWORD dst_unused:UNUSED_PAD src0_sel:DWORD src1_sel:BYTE_1
	v_lshl_or_b32 v67, v67, 3, v119
	s_waitcnt lgkmcnt(0)
	global_load_dwordx2 v[102:103], v75, s[0:1] offset:2048
	global_load_dwordx2 v[98:99], v76, s[0:1]
	global_load_dwordx2 v[100:101], v77, s[0:1] offset:2048
	global_load_dwordx2 v[94:95], v69, s[0:1]
	;; [unrolled: 2-line block ×3, first 2 shown]
	global_load_dwordx2 v[92:93], v67, s[0:1]
	v_or_b32_e32 v117, 48, v110
	v_mul_lo_u32 v73, v52, v117
	v_lshlrev_b32_sdwa v128, v118, v73 dst_sel:DWORD dst_unused:UNUSED_PAD src0_sel:DWORD src1_sel:BYTE_0
	v_lshlrev_b32_sdwa v129, v118, v73 dst_sel:DWORD dst_unused:UNUSED_PAD src0_sel:DWORD src1_sel:BYTE_1
	v_bfe_u32 v73, v73, 16, 8
	v_lshl_or_b32 v73, v73, 3, v119
	s_mov_b32 s20, 0x3f737871
	s_mov_b32 s16, 0x3f167918
	;; [unrolled: 1-line block ×3, first 2 shown]
	s_andn2_b64 vcc, exec, s[2:3]
	s_waitcnt vmcnt(14)
	v_pk_mul_f32 v[76:77], v[26:27], v[18:19] op_sel:[0,1]
	s_waitcnt vmcnt(13)
	v_pk_mul_f32 v[80:81], v[30:31], v[20:21] op_sel:[0,1]
	v_pk_mul_f32 v[78:79], v[28:29], v[16:17] op_sel:[0,1]
	v_pk_fma_f32 v[86:87], v[26:27], v[18:19], v[76:77] op_sel:[0,0,1] op_sel_hi:[1,1,0] neg_lo:[0,0,1] neg_hi:[0,0,1]
	v_pk_fma_f32 v[26:27], v[26:27], v[18:19], v[76:77] op_sel:[0,0,1] op_sel_hi:[1,0,0]
	v_pk_fma_f32 v[76:77], v[30:31], v[20:21], v[80:81] op_sel:[0,0,1] op_sel_hi:[1,1,0] neg_lo:[0,0,1] neg_hi:[0,0,1]
	v_pk_fma_f32 v[82:83], v[30:31], v[20:21], v[80:81] op_sel:[0,0,1] op_sel_hi:[1,0,0]
	s_waitcnt vmcnt(12)
	v_mov_b32_e32 v20, v37
	v_pk_fma_f32 v[88:89], v[28:29], v[16:17], v[78:79] op_sel:[0,0,1] op_sel_hi:[1,1,0] neg_lo:[0,0,1] neg_hi:[0,0,1]
	v_pk_fma_f32 v[106:107], v[28:29], v[16:17], v[78:79] op_sel:[0,0,1] op_sel_hi:[1,0,0]
	v_pk_mul_f32 v[16:17], v[32:33], v[22:23] op_sel:[0,1]
	v_pk_mul_f32 v[18:19], v[14:15], v[34:35] op_sel:[0,1]
	v_pk_mul_f32 v[20:21], v[24:25], v[20:21] op_sel_hi:[1,0]
	v_pk_fma_f32 v[78:79], v[32:33], v[22:23], v[16:17] op_sel:[0,0,1] op_sel_hi:[1,1,0] neg_lo:[0,0,1] neg_hi:[0,0,1]
	v_pk_fma_f32 v[84:85], v[32:33], v[22:23], v[16:17] op_sel:[0,0,1] op_sel_hi:[1,0,0]
	v_pk_fma_f32 v[16:17], v[14:15], v[34:35], v[18:19] op_sel:[0,0,1] op_sel_hi:[1,1,0] neg_lo:[0,0,1] neg_hi:[0,0,1]
	v_pk_fma_f32 v[28:29], v[14:15], v[34:35], v[18:19] op_sel:[0,0,1] op_sel_hi:[1,0,0]
	s_waitcnt vmcnt(11)
	v_pk_mul_f32 v[18:19], v[38:39], v[10:11] op_sel:[0,1]
	v_pk_fma_f32 v[14:15], v[24:25], v[36:37], v[20:21] op_sel:[0,0,1] op_sel_hi:[1,1,0] neg_lo:[0,0,1] neg_hi:[0,0,1]
	v_pk_fma_f32 v[30:31], v[24:25], v[36:37], v[20:21] op_sel:[0,0,1] op_sel_hi:[1,0,0]
	v_pk_mul_f32 v[20:21], v[40:41], v[8:9] op_sel:[0,1]
	s_waitcnt vmcnt(10)
	v_pk_mul_f32 v[22:23], v[46:47], v[12:13] op_sel:[0,1]
	v_pk_fma_f32 v[32:33], v[38:39], v[10:11], v[18:19] op_sel:[0,0,1] op_sel_hi:[1,1,0] neg_lo:[0,0,1] neg_hi:[0,0,1]
	v_pk_fma_f32 v[24:25], v[38:39], v[10:11], v[18:19] op_sel:[0,0,1] op_sel_hi:[1,0,0]
	v_pk_fma_f32 v[90:91], v[40:41], v[8:9], v[20:21] op_sel:[0,0,1] op_sel_hi:[1,1,0] neg_lo:[0,0,1] neg_hi:[0,0,1]
	v_pk_fma_f32 v[108:109], v[40:41], v[8:9], v[20:21] op_sel:[0,0,1] op_sel_hi:[1,0,0]
	v_pk_mul_f32 v[8:9], v[48:49], v[2:3] op_sel:[0,1]
	s_waitcnt vmcnt(9)
	v_pk_mul_f32 v[10:11], v[6:7], v[42:43] op_sel:[0,1]
	v_pk_fma_f32 v[80:81], v[46:47], v[12:13], v[22:23] op_sel:[0,0,1] op_sel_hi:[1,1,0] neg_lo:[0,0,1] neg_hi:[0,0,1]
	v_pk_fma_f32 v[38:39], v[46:47], v[12:13], v[22:23] op_sel:[0,0,1] op_sel_hi:[1,0,0]
	v_pk_fma_f32 v[46:47], v[48:49], v[2:3], v[8:9] op_sel:[0,0,1] op_sel_hi:[1,1,0] neg_lo:[0,0,1] neg_hi:[0,0,1]
	v_pk_fma_f32 v[40:41], v[48:49], v[2:3], v[8:9] op_sel:[0,0,1] op_sel_hi:[1,0,0]
	;; [unrolled: 2-line block ×3, first 2 shown]
	global_load_dwordx2 v[42:43], v128, s[0:1]
	global_load_dwordx2 v[48:49], v129, s[0:1] offset:2048
	v_mov_b32_e32 v2, v45
	v_pk_mul_f32 v[2:3], v[4:5], v[2:3] op_sel_hi:[1,0]
	v_or_b32_e32 v106, 64, v110
	v_pk_fma_f32 v[22:23], v[4:5], v[44:45], v[2:3] op_sel:[0,0,1] op_sel_hi:[1,1,0] neg_lo:[0,0,1] neg_hi:[0,0,1]
	v_pk_fma_f32 v[36:37], v[4:5], v[44:45], v[2:3] op_sel:[0,0,1] op_sel_hi:[1,0,0]
	global_load_dwordx2 v[44:45], v73, s[0:1]
	s_waitcnt vmcnt(11)
	v_pk_mul_f32 v[2:3], v[0:1], v[120:121] op_sel_hi:[0,1]
	v_pk_fma_f32 v[0:1], v[72:73], v[120:121], v[2:3] op_sel:[0,0,1] op_sel_hi:[1,1,0] neg_lo:[0,0,1] neg_hi:[0,0,1]
	v_pk_mul_f32 v[4:5], v[74:75], v[122:123] op_sel_hi:[0,1]
	v_pk_fma_f32 v[8:9], v[72:73], v[120:121], v[2:3] op_sel:[0,0,1] op_sel_hi:[0,1,0]
	v_pk_fma_f32 v[2:3], v[70:71], v[122:123], v[4:5] op_sel:[0,0,1] op_sel_hi:[1,1,0] neg_lo:[0,0,1] neg_hi:[0,0,1]
	v_mul_lo_u32 v1, v52, v106
	v_lshlrev_b32_sdwa v3, v118, v1 dst_sel:DWORD dst_unused:UNUSED_PAD src0_sel:DWORD src1_sel:BYTE_0
	v_pk_fma_f32 v[10:11], v[70:71], v[122:123], v[4:5] op_sel:[0,0,1] op_sel_hi:[0,1,0]
	v_lshlrev_b32_sdwa v4, v118, v1 dst_sel:DWORD dst_unused:UNUSED_PAD src0_sel:DWORD src1_sel:BYTE_1
	global_load_dwordx2 v[70:71], v3, s[0:1]
	global_load_dwordx2 v[72:73], v4, s[0:1] offset:2048
	v_bfe_u32 v1, v1, 16, 8
	v_lshl_or_b32 v1, v1, 3, v119
	global_load_dwordx2 v[74:75], v1, s[0:1]
	v_bfe_u32 v1, v65, 16, 8
	s_waitcnt vmcnt(13)
	v_pk_mul_f32 v[6:7], v[68:69], v[124:125] op_sel_hi:[0,1]
	v_lshl_or_b32 v1, v1, 3, v119
	v_pk_fma_f32 v[4:5], v[66:67], v[124:125], v[6:7] op_sel:[0,0,1] op_sel_hi:[1,1,0] neg_lo:[0,0,1] neg_hi:[0,0,1]
	v_pk_fma_f32 v[12:13], v[66:67], v[124:125], v[6:7] op_sel:[0,0,1] op_sel_hi:[0,1,0]
	global_load_dwordx2 v[66:67], v1, s[0:1]
	s_waitcnt vmcnt(8)
	v_mul_f32_e32 v1, v105, v103
	v_fma_f32 v36, v104, v102, -v1
	v_mul_f32_e32 v1, v99, v101
	v_pk_mul_f32 v[18:19], v[56:57], v[126:127] op_sel_hi:[0,1]
	v_fma_f32 v108, v98, v100, -v1
	v_mul_f32_e32 v1, v94, v96
	v_mov_b32_e32 v87, v27
	v_pk_fma_f32 v[6:7], v[64:65], v[126:127], v[18:19] op_sel:[0,0,1] op_sel_hi:[1,1,0] neg_lo:[0,0,1] neg_hi:[0,0,1]
	v_pk_fma_f32 v[18:19], v[64:65], v[126:127], v[18:19] op_sel:[0,0,1] op_sel_hi:[0,1,0]
	v_fma_f32 v1, -v95, v97, v1
	v_pk_mul_f32 v[64:65], v[94:95], v[96:97] op_sel:[1,0] op_sel_hi:[0,1]
	v_mov_b32_e32 v89, v107
	v_mov_b32_e32 v33, v25
	v_pk_add_f32 v[24:25], v[62:63], v[86:87]
	v_add_f32_e32 v3, v64, v65
	s_waitcnt vmcnt(7)
	v_mul_f32_e32 v8, v1, v93
	v_pk_add_f32 v[24:25], v[24:25], v[88:89]
	v_fmac_f32_e32 v8, v92, v3
	v_mul_f32_e32 v3, v3, v93
	v_mov_b32_e32 v91, v109
	v_pk_add_f32 v[24:25], v[24:25], v[32:33]
	v_fma_f32 v10, v92, v1, -v3
	v_pk_add_f32 v[26:27], v[24:25], v[90:91]
	v_bfe_u32 v1, v55, 16, 8
	v_pk_mul_f32 v[64:65], v[26:27], v[8:9] op_sel_hi:[1,0]
	v_lshl_or_b32 v1, v1, 3, v119
	v_pk_fma_f32 v[24:25], v[26:27], v[10:11], v[64:65] op_sel:[0,0,1] op_sel_hi:[1,1,0] neg_lo:[0,0,1] neg_hi:[0,0,1]
	v_pk_fma_f32 v[64:65], v[26:27], v[10:11], v[64:65] op_sel:[0,0,1] op_sel_hi:[1,0,0]
	global_load_dwordx2 v[68:69], v1, s[0:1]
	v_pk_add_f32 v[92:93], v[88:89], v[32:33] neg_lo:[0,1] neg_hi:[0,1]
	v_pk_add_f32 v[96:97], v[86:87], v[90:91] neg_lo:[0,1] neg_hi:[0,1]
	v_mul_f32_e32 v120, v98, v101
	v_fmac_f32_e32 v120, v99, v100
	v_mov_b32_e32 v77, v83
	v_mov_b32_e32 v79, v85
	;; [unrolled: 1-line block ×3, first 2 shown]
	v_pk_add_f32 v[38:39], v[60:61], v[76:77]
	v_mov_b32_e32 v47, v41
	v_pk_add_f32 v[38:39], v[38:39], v[78:79]
	v_mul_f32_e32 v56, v104, v103
	v_pk_add_f32 v[38:39], v[38:39], v[80:81]
	v_fmac_f32_e32 v56, v105, v102
	v_pk_add_f32 v[40:41], v[38:39], v[46:47]
	v_mov_b32_e32 v17, v29
	v_pk_add_f32 v[28:29], v[58:59], v[16:17]
	v_mov_b32_e32 v21, v35
	v_mov_b32_e32 v23, v37
	v_pk_add_f32 v[130:131], v[16:17], v[22:23] neg_lo:[0,1] neg_hi:[0,1]
	v_and_b32_e32 v18, 15, v112
	v_mov_b32_e32 v55, v57
	s_waitcnt vmcnt(6)
	v_mul_f32_e32 v1, v42, v48
	v_pk_mul_f32 v[26:27], v[42:43], v[48:49] op_sel:[1,0] op_sel_hi:[0,1]
	v_fma_f32 v1, -v43, v49, v1
	v_add_f32_e32 v3, v26, v27
	v_pk_add_f32 v[26:27], v[88:89], v[86:87] neg_lo:[0,1] neg_hi:[0,1]
	v_pk_add_f32 v[42:43], v[32:33], v[90:91] neg_lo:[0,1] neg_hi:[0,1]
	s_waitcnt vmcnt(5)
	v_mul_f32_e32 v8, v1, v45
	v_pk_add_f32 v[26:27], v[26:27], v[42:43]
	v_pk_add_f32 v[42:43], v[86:87], v[90:91]
	v_fmac_f32_e32 v8, v44, v3
	v_pk_fma_f32 v[42:43], v[42:43], 0.5, v[62:63] op_sel_hi:[1,0,1] neg_lo:[1,0,0] neg_hi:[1,0,0]
	v_mul_f32_e32 v3, v3, v45
	v_pk_fma_f32 v[94:95], v[92:93], s[20:21], v[42:43] op_sel:[1,0,0] op_sel_hi:[0,0,1] neg_lo:[1,0,0] neg_hi:[1,0,0]
	v_pk_fma_f32 v[42:43], v[92:93], s[20:21], v[42:43] op_sel:[1,0,0] op_sel_hi:[0,0,1]
	v_fma_f32 v10, v44, v1, -v3
	v_pk_fma_f32 v[42:43], v[96:97], s[16:17], v[42:43] op_sel:[1,0,0] op_sel_hi:[0,0,1] neg_lo:[1,0,0] neg_hi:[1,0,0]
	v_pk_mul_f32 v[44:45], v[26:27], s[18:19] op_sel_hi:[1,0]
	v_pk_fma_f32 v[48:49], v[96:97], s[16:17], v[94:95] op_sel:[1,0,0] op_sel_hi:[0,0,1]
	v_add_f32_e32 v45, v45, v43
	v_mov_b32_e32 v43, v49
	v_and_b32_e32 v1, 15, v111
	v_pk_fma_f32 v[42:43], v[26:27], s[18:19], v[42:43] op_sel_hi:[1,0,1]
	v_mul_lo_u32 v3, v52, v1
	v_pk_mul_f32 v[48:49], v[42:43], v[8:9] op_sel_hi:[1,0]
	v_lshlrev_b32_sdwa v5, v118, v3 dst_sel:DWORD dst_unused:UNUSED_PAD src0_sel:DWORD src1_sel:BYTE_0
	v_pk_fma_f32 v[26:27], v[42:43], v[10:11], v[48:49] op_sel:[0,0,1] op_sel_hi:[1,1,0] neg_lo:[0,0,1] neg_hi:[0,0,1]
	v_pk_fma_f32 v[48:49], v[42:43], v[10:11], v[48:49] op_sel:[0,0,1] op_sel_hi:[1,0,0]
	global_load_dwordx2 v[42:43], v5, s[0:1]
	s_waitcnt vmcnt(4)
	v_mul_f32_e32 v5, v70, v72
	v_fma_f32 v5, -v71, v73, v5
	v_pk_mul_f32 v[70:71], v[70:71], v[72:73] op_sel:[1,0] op_sel_hi:[0,1]
	v_add_f32_e32 v7, v70, v71
	s_waitcnt vmcnt(3)
	v_mul_f32_e32 v8, v5, v75
	v_fmac_f32_e32 v8, v74, v7
	v_mul_f32_e32 v7, v7, v75
	v_fma_f32 v10, v74, v5, -v7
	v_pk_add_f32 v[70:71], v[88:89], v[32:33]
	v_or_b32_e32 v5, 16, v1
	v_pk_fma_f32 v[62:63], v[70:71], 0.5, v[62:63] op_sel_hi:[1,0,1] neg_lo:[1,0,0] neg_hi:[1,0,0]
	v_pk_add_f32 v[70:71], v[86:87], v[88:89] neg_lo:[0,1] neg_hi:[0,1]
	v_pk_add_f32 v[32:33], v[90:91], v[32:33] neg_lo:[0,1] neg_hi:[0,1]
	v_mul_lo_u32 v5, v52, v5
	v_pk_add_f32 v[32:33], v[70:71], v[32:33]
	v_pk_fma_f32 v[72:73], v[96:97], s[20:21], v[62:63] op_sel:[1,0,0] op_sel_hi:[0,0,1]
	v_pk_fma_f32 v[62:63], v[96:97], s[20:21], v[62:63] op_sel:[1,0,0] op_sel_hi:[0,0,1] neg_lo:[1,0,0] neg_hi:[1,0,0]
	v_lshlrev_b32_sdwa v7, v118, v5 dst_sel:DWORD dst_unused:UNUSED_PAD src0_sel:DWORD src1_sel:BYTE_0
	v_pk_fma_f32 v[70:71], v[92:93], s[16:17], v[62:63] op_sel:[1,0,0] op_sel_hi:[0,0,1] neg_lo:[1,0,0] neg_hi:[1,0,0]
	v_pk_mul_f32 v[62:63], v[32:33], s[18:19] op_sel_hi:[1,0]
	v_lshlrev_b32_sdwa v12, v118, v5 dst_sel:DWORD dst_unused:UNUSED_PAD src0_sel:DWORD src1_sel:BYTE_1
	global_load_dwordx2 v[74:75], v7, s[0:1]
	global_load_dwordx2 v[86:87], v12, s[0:1] offset:2048
	v_pk_fma_f32 v[88:89], v[92:93], s[16:17], v[72:73] op_sel:[1,0,0] op_sel_hi:[0,0,1]
	v_or_b32_e32 v7, 32, v1
	v_add_f32_e32 v27, v63, v71
	v_mov_b32_e32 v71, v89
	v_mul_lo_u32 v7, v52, v7
	v_pk_fma_f32 v[70:71], v[32:33], s[18:19], v[70:71] op_sel_hi:[1,0,1]
	v_lshlrev_b32_sdwa v12, v118, v7 dst_sel:DWORD dst_unused:UNUSED_PAD src0_sel:DWORD src1_sel:BYTE_0
	v_lshlrev_b32_sdwa v15, v118, v7 dst_sel:DWORD dst_unused:UNUSED_PAD src0_sel:DWORD src1_sel:BYTE_1
	global_load_dwordx2 v[88:89], v12, s[0:1]
	global_load_dwordx2 v[90:91], v15, s[0:1] offset:2048
	v_pk_mul_f32 v[98:99], v[70:71], v[8:9] op_sel_hi:[1,0]
	v_lshlrev_b32_sdwa v8, v118, v3 dst_sel:DWORD dst_unused:UNUSED_PAD src0_sel:DWORD src1_sel:BYTE_1
	global_load_dwordx2 v[100:101], v8, s[0:1] offset:2048
	v_bfe_u32 v3, v3, 16, 8
	v_lshl_or_b32 v3, v3, 3, v119
	v_pk_fma_f32 v[32:33], v[70:71], v[10:11], v[98:99] op_sel:[0,0,1] op_sel_hi:[1,1,0] neg_lo:[0,0,1] neg_hi:[0,0,1]
	v_pk_fma_f32 v[70:71], v[70:71], v[10:11], v[98:99] op_sel:[0,0,1] op_sel_hi:[1,0,0]
	global_load_dwordx2 v[98:99], v3, s[0:1]
	v_mov_b32_e32 v15, v31
	v_pk_add_f32 v[28:29], v[28:29], v[14:15]
	s_waitcnt vmcnt(4)
	v_mul_f32_e32 v3, v75, v87
	v_fma_f32 v25, v74, v86, -v3
	v_bfe_u32 v3, v5, 16, 8
	v_bfe_u32 v5, v7, 16, 8
	v_mul_f32_e32 v33, v74, v87
	v_lshl_or_b32 v3, v3, 3, v119
	v_lshl_or_b32 v5, v5, 3, v119
	v_fmac_f32_e32 v33, v75, v86
	global_load_dwordx2 v[74:75], v5, s[0:1]
	global_load_dwordx2 v[86:87], v3, s[0:1]
	s_waitcnt vmcnt(4)
	v_mul_f32_e32 v3, v89, v91
	v_fma_f32 v48, v88, v90, -v3
	v_or_b32_e32 v7, 48, v1
	s_waitcnt vmcnt(3)
	v_mul_f32_e32 v3, v42, v100
	v_fma_f32 v3, -v43, v101, v3
	v_pk_mul_f32 v[42:43], v[42:43], v[100:101] op_sel:[1,0] op_sel_hi:[0,1]
	v_add_f32_e32 v5, v42, v43
	v_mul_lo_u32 v7, v52, v7
	s_waitcnt vmcnt(2)
	v_mul_f32_e32 v8, v3, v99
	v_mul_f32_e32 v63, v88, v91
	v_fmac_f32_e32 v8, v98, v5
	v_mul_f32_e32 v5, v5, v99
	v_lshlrev_b32_sdwa v10, v118, v7 dst_sel:DWORD dst_unused:UNUSED_PAD src0_sel:DWORD src1_sel:BYTE_0
	v_fmac_f32_e32 v63, v89, v90
	v_lshlrev_b32_sdwa v12, v118, v7 dst_sel:DWORD dst_unused:UNUSED_PAD src0_sel:DWORD src1_sel:BYTE_1
	global_load_dwordx2 v[42:43], v10, s[0:1]
	global_load_dwordx2 v[88:89], v12, s[0:1] offset:2048
	v_fma_f32 v10, v98, v3, -v5
	v_bfe_u32 v3, v7, 16, 8
	v_lshl_or_b32 v3, v3, 3, v119
	global_load_dwordx2 v[90:91], v3, s[0:1]
	v_or_b32_e32 v1, 64, v1
	v_mul_lo_u32 v1, v52, v1
	v_lshlrev_b32_sdwa v3, v118, v1 dst_sel:DWORD dst_unused:UNUSED_PAD src0_sel:DWORD src1_sel:BYTE_0
	v_pk_mul_f32 v[82:83], v[40:41], v[8:9] op_sel_hi:[1,0]
	global_load_dwordx2 v[102:103], v3, s[0:1]
	v_pk_fma_f32 v[38:39], v[40:41], v[10:11], v[82:83] op_sel:[0,0,1] op_sel_hi:[1,1,0] neg_lo:[0,0,1] neg_hi:[0,0,1]
	v_pk_fma_f32 v[82:83], v[40:41], v[10:11], v[82:83] op_sel:[0,0,1] op_sel_hi:[1,0,0]
	v_pk_add_f32 v[100:101], v[76:77], v[46:47] neg_lo:[0,1] neg_hi:[0,1]
	v_pk_add_f32 v[28:29], v[28:29], v[20:21]
	s_waitcnt vmcnt(2)
	v_mul_f32_e32 v3, v42, v88
	v_fma_f32 v3, -v43, v89, v3
	v_pk_mul_f32 v[40:41], v[42:43], v[88:89] op_sel:[1,0] op_sel_hi:[0,1]
	v_add_f32_e32 v5, v40, v41
	s_waitcnt vmcnt(1)
	v_mul_f32_e32 v8, v3, v91
	v_pk_add_f32 v[40:41], v[78:79], v[76:77] neg_lo:[0,1] neg_hi:[0,1]
	v_pk_add_f32 v[42:43], v[80:81], v[46:47] neg_lo:[0,1] neg_hi:[0,1]
	v_fmac_f32_e32 v8, v90, v5
	v_mul_f32_e32 v5, v5, v91
	v_pk_add_f32 v[40:41], v[40:41], v[42:43]
	v_pk_add_f32 v[42:43], v[76:77], v[46:47]
	v_fma_f32 v10, v90, v3, -v5
	v_pk_fma_f32 v[42:43], v[42:43], 0.5, v[60:61] op_sel_hi:[1,0,1] neg_lo:[1,0,0] neg_hi:[1,0,0]
	v_pk_add_f32 v[90:91], v[78:79], v[80:81] neg_lo:[0,1] neg_hi:[0,1]
	v_pk_mul_f32 v[84:85], v[40:41], s[18:19] op_sel_hi:[1,0]
	v_pk_fma_f32 v[98:99], v[90:91], s[20:21], v[42:43] op_sel:[1,0,0] op_sel_hi:[0,0,1] neg_lo:[1,0,0] neg_hi:[1,0,0]
	v_pk_fma_f32 v[42:43], v[90:91], s[20:21], v[42:43] op_sel:[1,0,0] op_sel_hi:[0,0,1]
	v_pk_fma_f32 v[42:43], v[100:101], s[16:17], v[42:43] op_sel:[1,0,0] op_sel_hi:[0,0,1] neg_lo:[1,0,0] neg_hi:[1,0,0]
	v_pk_fma_f32 v[88:89], v[100:101], s[16:17], v[98:99] op_sel:[1,0,0] op_sel_hi:[0,0,1]
	v_add_f32_e32 v64, v85, v43
	v_mov_b32_e32 v43, v89
	v_pk_fma_f32 v[42:43], v[40:41], s[18:19], v[42:43] op_sel_hi:[1,0,1]
	v_lshlrev_b32_sdwa v3, v118, v1 dst_sel:DWORD dst_unused:UNUSED_PAD src0_sel:DWORD src1_sel:BYTE_1
	v_pk_mul_f32 v[88:89], v[42:43], v[8:9] op_sel_hi:[1,0]
	v_bfe_u32 v1, v1, 16, 8
	v_pk_fma_f32 v[40:41], v[42:43], v[10:11], v[88:89] op_sel:[0,0,1] op_sel_hi:[1,1,0] neg_lo:[0,0,1] neg_hi:[0,0,1]
	v_pk_fma_f32 v[88:89], v[42:43], v[10:11], v[88:89] op_sel:[0,0,1] op_sel_hi:[1,0,0]
	v_lshl_or_b32 v1, v1, 3, v119
	global_load_dwordx2 v[42:43], v3, s[0:1] offset:2048
	global_load_dwordx2 v[104:105], v1, s[0:1]
	v_and_b32_e32 v1, 15, v51
	v_mul_lo_u32 v3, v52, v1
	v_lshlrev_b32_sdwa v5, v118, v3 dst_sel:DWORD dst_unused:UNUSED_PAD src0_sel:DWORD src1_sel:BYTE_0
	v_lshlrev_b32_sdwa v7, v118, v3 dst_sel:DWORD dst_unused:UNUSED_PAD src0_sel:DWORD src1_sel:BYTE_1
	global_load_dwordx2 v[122:123], v5, s[0:1]
	global_load_dwordx2 v[124:125], v7, s[0:1] offset:2048
	v_pk_add_f32 v[46:47], v[46:47], v[80:81] neg_lo:[0,1] neg_hi:[0,1]
	v_bfe_u32 v3, v3, 16, 8
	v_lshl_or_b32 v3, v3, 3, v119
	v_pk_add_f32 v[30:31], v[28:29], v[22:23]
	s_waitcnt vmcnt(3)
	v_mul_f32_e32 v5, v102, v42
	v_fma_f32 v5, -v103, v43, v5
	v_pk_mul_f32 v[42:43], v[102:103], v[42:43] op_sel:[1,0] op_sel_hi:[0,1]
	v_add_f32_e32 v7, v42, v43
	v_pk_add_f32 v[42:43], v[78:79], v[80:81]
	s_waitcnt vmcnt(2)
	v_mul_f32_e32 v8, v5, v105
	v_pk_fma_f32 v[42:43], v[42:43], 0.5, v[60:61] op_sel_hi:[1,0,1] neg_lo:[1,0,0] neg_hi:[1,0,0]
	v_pk_add_f32 v[60:61], v[76:77], v[78:79] neg_lo:[0,1] neg_hi:[0,1]
	v_pk_fma_f32 v[76:77], v[100:101], s[20:21], v[42:43] op_sel:[1,0,0] op_sel_hi:[0,0,1]
	v_pk_add_f32 v[46:47], v[60:61], v[46:47]
	v_pk_fma_f32 v[42:43], v[100:101], s[20:21], v[42:43] op_sel:[1,0,0] op_sel_hi:[0,0,1] neg_lo:[1,0,0] neg_hi:[1,0,0]
	v_fmac_f32_e32 v8, v104, v7
	v_mul_f32_e32 v7, v7, v105
	v_pk_fma_f32 v[42:43], v[90:91], s[16:17], v[42:43] op_sel:[1,0,0] op_sel_hi:[0,0,1] neg_lo:[1,0,0] neg_hi:[1,0,0]
	v_pk_mul_f32 v[60:61], v[46:47], s[18:19] op_sel_hi:[1,0]
	v_pk_fma_f32 v[78:79], v[90:91], s[16:17], v[76:77] op_sel:[1,0,0] op_sel_hi:[0,0,1]
	v_fma_f32 v10, v104, v5, -v7
	v_add_f32_e32 v41, v61, v43
	v_mov_b32_e32 v43, v79
	v_or_b32_e32 v5, 16, v1
	v_pk_fma_f32 v[46:47], v[46:47], s[18:19], v[42:43] op_sel_hi:[1,0,1]
	v_mul_lo_u32 v5, v52, v5
	v_pk_mul_f32 v[78:79], v[46:47], v[8:9] op_sel_hi:[1,0]
	v_lshlrev_b32_sdwa v7, v118, v5 dst_sel:DWORD dst_unused:UNUSED_PAD src0_sel:DWORD src1_sel:BYTE_0
	v_lshlrev_b32_sdwa v8, v118, v5 dst_sel:DWORD dst_unused:UNUSED_PAD src0_sel:DWORD src1_sel:BYTE_1
	v_bfe_u32 v5, v5, 16, 8
	v_pk_fma_f32 v[42:43], v[46:47], v[10:11], v[78:79] op_sel:[0,0,1] op_sel_hi:[1,1,0] neg_lo:[0,0,1] neg_hi:[0,0,1]
	v_pk_fma_f32 v[46:47], v[46:47], v[10:11], v[78:79] op_sel:[0,0,1] op_sel_hi:[1,0,0]
	v_lshl_or_b32 v5, v5, 3, v119
	global_load_dwordx2 v[80:81], v7, s[0:1]
	global_load_dwordx2 v[102:103], v8, s[0:1] offset:2048
	global_load_dwordx2 v[78:79], v5, s[0:1]
	global_load_dwordx2 v[104:105], v3, s[0:1]
	s_waitcnt vmcnt(2)
	v_mul_f32_e32 v3, v81, v103
	v_fma_f32 v39, v80, v102, -v3
	v_or_b32_e32 v3, 32, v1
	v_mul_lo_u32 v3, v52, v3
	v_mul_f32_e32 v43, v80, v103
	v_lshlrev_b32_sdwa v5, v118, v3 dst_sel:DWORD dst_unused:UNUSED_PAD src0_sel:DWORD src1_sel:BYTE_0
	v_lshlrev_b32_sdwa v7, v118, v3 dst_sel:DWORD dst_unused:UNUSED_PAD src0_sel:DWORD src1_sel:BYTE_1
	v_bfe_u32 v3, v3, 16, 8
	v_fmac_f32_e32 v43, v81, v102
	v_lshl_or_b32 v3, v3, 3, v119
	global_load_dwordx2 v[102:103], v5, s[0:1]
	global_load_dwordx2 v[126:127], v7, s[0:1] offset:2048
	global_load_dwordx2 v[80:81], v3, s[0:1]
	s_waitcnt vmcnt(1)
	v_mul_f32_e32 v3, v103, v127
	v_fma_f32 v61, v102, v126, -v3
	v_mul_f32_e32 v70, v102, v127
	v_mul_f32_e32 v3, v122, v124
	v_fmac_f32_e32 v70, v103, v126
	v_fma_f32 v3, -v123, v125, v3
	v_pk_mul_f32 v[102:103], v[122:123], v[124:125] op_sel:[1,0] op_sel_hi:[0,1]
	v_add_f32_e32 v5, v102, v103
	v_mul_f32_e32 v8, v3, v105
	v_fmac_f32_e32 v8, v104, v5
	v_mul_f32_e32 v5, v5, v105
	v_fma_f32 v10, v104, v3, -v5
	v_or_b32_e32 v3, 48, v1
	v_mul_lo_u32 v3, v52, v3
	v_pk_mul_f32 v[34:35], v[30:31], v[8:9] op_sel_hi:[1,0]
	v_lshlrev_b32_sdwa v5, v118, v3 dst_sel:DWORD dst_unused:UNUSED_PAD src0_sel:DWORD src1_sel:BYTE_0
	v_lshlrev_b32_sdwa v7, v118, v3 dst_sel:DWORD dst_unused:UNUSED_PAD src0_sel:DWORD src1_sel:BYTE_1
	v_bfe_u32 v3, v3, 16, 8
	v_pk_fma_f32 v[28:29], v[30:31], v[10:11], v[34:35] op_sel:[0,0,1] op_sel_hi:[1,1,0] neg_lo:[0,0,1] neg_hi:[0,0,1]
	v_pk_fma_f32 v[34:35], v[30:31], v[10:11], v[34:35] op_sel:[0,0,1] op_sel_hi:[1,0,0]
	v_lshl_or_b32 v3, v3, 3, v119
	global_load_dwordx2 v[30:31], v5, s[0:1]
	global_load_dwordx2 v[102:103], v7, s[0:1] offset:2048
	global_load_dwordx2 v[104:105], v3, s[0:1]
	v_or_b32_e32 v1, 64, v1
	v_mul_lo_u32 v1, v52, v1
	v_lshlrev_b32_sdwa v3, v118, v1 dst_sel:DWORD dst_unused:UNUSED_PAD src0_sel:DWORD src1_sel:BYTE_0
	v_lshlrev_b32_sdwa v5, v118, v1 dst_sel:DWORD dst_unused:UNUSED_PAD src0_sel:DWORD src1_sel:BYTE_1
	global_load_dwordx2 v[122:123], v3, s[0:1]
	global_load_dwordx2 v[124:125], v5, s[0:1] offset:2048
	v_pk_add_f32 v[126:127], v[14:15], v[20:21] neg_lo:[0,1] neg_hi:[0,1]
	v_bfe_u32 v1, v1, 16, 8
	v_mul_lo_u32 v7, v52, v18
	v_lshl_or_b32 v1, v1, 3, v119
	s_waitcnt vmcnt(3)
	v_mul_f32_e32 v3, v30, v102
	v_fma_f32 v3, -v31, v103, v3
	v_pk_mul_f32 v[30:31], v[30:31], v[102:103] op_sel:[1,0] op_sel_hi:[0,1]
	v_add_f32_e32 v5, v30, v31
	v_pk_add_f32 v[30:31], v[14:15], v[16:17] neg_lo:[0,1] neg_hi:[0,1]
	v_pk_add_f32 v[102:103], v[20:21], v[22:23] neg_lo:[0,1] neg_hi:[0,1]
	s_waitcnt vmcnt(2)
	v_mul_f32_e32 v8, v3, v105
	v_pk_add_f32 v[30:31], v[30:31], v[102:103]
	v_pk_add_f32 v[102:103], v[16:17], v[22:23]
	v_fmac_f32_e32 v8, v104, v5
	v_pk_fma_f32 v[102:103], v[102:103], 0.5, v[58:59] op_sel_hi:[1,0,1] neg_lo:[1,0,0] neg_hi:[1,0,0]
	v_mul_f32_e32 v5, v5, v105
	v_pk_fma_f32 v[128:129], v[126:127], s[20:21], v[102:103] op_sel:[1,0,0] op_sel_hi:[0,0,1] neg_lo:[1,0,0] neg_hi:[1,0,0]
	v_pk_fma_f32 v[102:103], v[126:127], s[20:21], v[102:103] op_sel:[1,0,0] op_sel_hi:[0,0,1]
	v_fma_f32 v10, v104, v3, -v5
	v_pk_fma_f32 v[104:105], v[130:131], s[16:17], v[102:103] op_sel:[1,0,0] op_sel_hi:[0,0,1] neg_lo:[1,0,0] neg_hi:[1,0,0]
	v_pk_mul_f32 v[102:103], v[30:31], s[18:19] op_sel_hi:[1,0]
	v_pk_fma_f32 v[132:133], v[130:131], s[16:17], v[128:129] op_sel:[1,0,0] op_sel_hi:[0,0,1]
	v_add_f32_e32 v73, v103, v105
	v_mov_b32_e32 v105, v133
	v_pk_fma_f32 v[104:105], v[30:31], s[18:19], v[104:105] op_sel_hi:[1,0,1]
	s_waitcnt vmcnt(0)
	v_mul_f32_e32 v3, v122, v124
	v_pk_mul_f32 v[132:133], v[104:105], v[8:9] op_sel_hi:[1,0]
	v_fma_f32 v3, -v123, v125, v3
	v_pk_fma_f32 v[30:31], v[104:105], v[10:11], v[132:133] op_sel:[0,0,1] op_sel_hi:[1,1,0] neg_lo:[0,0,1] neg_hi:[0,0,1]
	v_pk_fma_f32 v[104:105], v[104:105], v[10:11], v[132:133] op_sel:[0,0,1] op_sel_hi:[1,0,0]
	v_pk_mul_f32 v[122:123], v[122:123], v[124:125] op_sel:[1,0] op_sel_hi:[0,1]
	v_lshlrev_b32_sdwa v8, v118, v7 dst_sel:DWORD dst_unused:UNUSED_PAD src0_sel:DWORD src1_sel:BYTE_0
	v_lshlrev_b32_sdwa v10, v118, v7 dst_sel:DWORD dst_unused:UNUSED_PAD src0_sel:DWORD src1_sel:BYTE_1
	v_bfe_u32 v7, v7, 16, 8
	v_add_f32_e32 v5, v122, v123
	v_lshl_or_b32 v7, v7, 3, v119
	global_load_dwordx2 v[122:123], v1, s[0:1]
	global_load_dwordx2 v[124:125], v8, s[0:1]
	global_load_dwordx2 v[132:133], v10, s[0:1] offset:2048
	global_load_dwordx2 v[134:135], v7, s[0:1]
	v_mov_b32_e32 v7, v19
	s_waitcnt vmcnt(3)
	v_mul_f32_e32 v8, v3, v123
	v_mul_f32_e32 v1, v5, v123
	v_fmac_f32_e32 v8, v122, v5
	v_fma_f32 v10, v122, v3, -v1
	v_pk_add_f32 v[122:123], v[14:15], v[20:21]
	v_pk_add_f32 v[14:15], v[16:17], v[14:15] neg_lo:[0,1] neg_hi:[0,1]
	v_pk_fma_f32 v[58:59], v[122:123], 0.5, v[58:59] op_sel_hi:[1,0,1] neg_lo:[1,0,0] neg_hi:[1,0,0]
	v_pk_add_f32 v[16:17], v[22:23], v[20:21] neg_lo:[0,1] neg_hi:[0,1]
	v_pk_fma_f32 v[20:21], v[130:131], s[20:21], v[58:59] op_sel:[1,0,0] op_sel_hi:[0,0,1]
	v_pk_add_f32 v[14:15], v[14:15], v[16:17]
	v_pk_fma_f32 v[16:17], v[130:131], s[20:21], v[58:59] op_sel:[1,0,0] op_sel_hi:[0,0,1] neg_lo:[1,0,0] neg_hi:[1,0,0]
	v_pk_fma_f32 v[16:17], v[126:127], s[16:17], v[16:17] op_sel:[1,0,0] op_sel_hi:[0,0,1] neg_lo:[1,0,0] neg_hi:[1,0,0]
	v_pk_mul_f32 v[22:23], v[14:15], s[18:19] op_sel_hi:[1,0]
	v_pk_fma_f32 v[58:59], v[126:127], s[16:17], v[20:21] op_sel:[1,0,0] op_sel_hi:[0,0,1]
	v_add_f32_e32 v23, v23, v17
	v_mov_b32_e32 v17, v59
	v_or_b32_e32 v1, 16, v18
	v_pk_fma_f32 v[16:17], v[14:15], s[18:19], v[16:17] op_sel_hi:[1,0,1]
	v_mul_lo_u32 v1, v52, v1
	v_pk_mul_f32 v[58:59], v[16:17], v[8:9] op_sel_hi:[1,0]
	v_lshlrev_b32_sdwa v3, v118, v1 dst_sel:DWORD dst_unused:UNUSED_PAD src0_sel:DWORD src1_sel:BYTE_0
	v_lshlrev_b32_sdwa v5, v118, v1 dst_sel:DWORD dst_unused:UNUSED_PAD src0_sel:DWORD src1_sel:BYTE_1
	v_bfe_u32 v1, v1, 16, 8
	v_pk_fma_f32 v[14:15], v[16:17], v[10:11], v[58:59] op_sel:[0,0,1] op_sel_hi:[1,1,0] neg_lo:[0,0,1] neg_hi:[0,0,1]
	v_pk_fma_f32 v[122:123], v[16:17], v[10:11], v[58:59] op_sel:[0,0,1] op_sel_hi:[1,0,0]
	v_lshl_or_b32 v1, v1, 3, v119
	global_load_dwordx2 v[16:17], v3, s[0:1]
	global_load_dwordx2 v[58:59], v5, s[0:1] offset:2048
	global_load_dwordx2 v[136:137], v1, s[0:1]
	v_or_b32_e32 v3, 48, v18
	v_mul_lo_u32 v29, v52, v3
	v_fmamk_f32 v20, v127, 0x3f167918, v20
	s_waitcnt vmcnt(1)
	v_mul_f32_e32 v1, v17, v59
	v_fma_f32 v15, v16, v58, -v1
	v_or_b32_e32 v1, 32, v18
	v_mul_lo_u32 v1, v52, v1
	v_mul_f32_e32 v21, v16, v59
	v_lshlrev_b32_sdwa v3, v118, v1 dst_sel:DWORD dst_unused:UNUSED_PAD src0_sel:DWORD src1_sel:BYTE_0
	v_fmac_f32_e32 v21, v17, v58
	v_lshlrev_b32_sdwa v5, v118, v1 dst_sel:DWORD dst_unused:UNUSED_PAD src0_sel:DWORD src1_sel:BYTE_1
	global_load_dwordx2 v[16:17], v3, s[0:1]
	global_load_dwordx2 v[58:59], v5, s[0:1] offset:2048
	v_bfe_u32 v1, v1, 16, 8
	v_lshl_or_b32 v1, v1, 3, v119
	v_lshlrev_b32_sdwa v3, v118, v29 dst_sel:DWORD dst_unused:UNUSED_PAD src0_sel:DWORD src1_sel:BYTE_1
	global_load_dwordx2 v[138:139], v3, s[0:1] offset:2048
	global_load_dwordx2 v[140:141], v1, s[0:1]
	v_mov_b32_e32 v5, v13
	s_waitcnt vmcnt(2)
	v_mul_f32_e32 v1, v17, v59
	v_fma_f32 v31, v16, v58, -v1
	v_mul_f32_e32 v37, v16, v59
	v_mul_f32_e32 v1, v124, v132
	v_fmac_f32_e32 v37, v17, v58
	v_fma_f32 v1, -v125, v133, v1
	v_pk_mul_f32 v[16:17], v[124:125], v[132:133] op_sel:[1,0] op_sel_hi:[0,1]
	v_add_f32_e32 v3, v16, v17
	v_mul_f32_e32 v8, v1, v135
	v_fmac_f32_e32 v8, v134, v3
	v_mul_f32_e32 v3, v3, v135
	v_fma_f32 v10, v134, v1, -v3
	v_mov_b32_e32 v1, v9
	v_mov_b32_e32 v3, v11
	v_pk_add_f32 v[12:13], v[54:55], v[0:1]
	v_pk_add_f32 v[134:135], v[0:1], v[6:7] neg_lo:[0,1] neg_hi:[0,1]
	v_pk_add_f32 v[12:13], v[12:13], v[2:3]
	s_nop 0
	v_pk_add_f32 v[12:13], v[12:13], v[4:5]
	s_nop 0
	;; [unrolled: 2-line block ×3, first 2 shown]
	v_pk_mul_f32 v[8:9], v[12:13], v[8:9] op_sel_hi:[1,0]
	s_nop 0
	v_pk_fma_f32 v[16:17], v[12:13], v[10:11], v[8:9] op_sel:[0,0,1] op_sel_hi:[1,1,0] neg_lo:[0,0,1] neg_hi:[0,0,1]
	v_pk_fma_f32 v[124:125], v[12:13], v[10:11], v[8:9] op_sel:[0,0,1] op_sel_hi:[1,0,0]
	v_lshlrev_b32_sdwa v8, v118, v29 dst_sel:DWORD dst_unused:UNUSED_PAD src0_sel:DWORD src1_sel:BYTE_0
	global_load_dwordx2 v[8:9], v8, s[0:1]
	s_waitcnt vmcnt(0)
	v_mul_f32_e32 v10, v8, v138
	v_fma_f32 v17, -v9, v139, v10
	v_pk_mul_f32 v[8:9], v[8:9], v[138:139] op_sel:[1,0] op_sel_hi:[0,1]
	v_add_f32_e32 v46, v8, v9
	v_bfe_u32 v8, v29, 16, 8
	v_lshl_or_b32 v29, v8, 3, v119
	v_or_b32_e32 v8, 64, v18
	v_mul_lo_u32 v8, v52, v8
	v_lshlrev_b32_sdwa v34, v118, v8 dst_sel:DWORD dst_unused:UNUSED_PAD src0_sel:DWORD src1_sel:BYTE_0
	v_lshlrev_b32_sdwa v57, v118, v8 dst_sel:DWORD dst_unused:UNUSED_PAD src0_sel:DWORD src1_sel:BYTE_1
	v_bfe_u32 v8, v8, 16, 8
	v_lshl_or_b32 v58, v8, 3, v119
	global_load_dwordx2 v[18:19], v29, s[0:1]
	global_load_dwordx2 v[8:9], v34, s[0:1]
	global_load_dwordx2 v[12:13], v57, s[0:1] offset:2048
	global_load_dwordx2 v[10:11], v58, s[0:1]
	v_pk_add_f32 v[58:59], v[4:5], v[6:7] neg_lo:[0,1] neg_hi:[0,1]
	v_pk_add_f32 v[118:119], v[2:3], v[4:5] neg_lo:[0,1] neg_hi:[0,1]
	v_mul_f32_e32 v29, v120, v69
	v_fma_f32 v29, v68, v108, -v29
	s_waitcnt vmcnt(3)
	v_mul_f32_e32 v34, v17, v19
	v_mul_f32_e32 v19, v46, v19
	v_fmac_f32_e32 v34, v18, v46
	v_fma_f32 v46, v18, v17, -v19
	v_pk_add_f32 v[18:19], v[2:3], v[0:1] neg_lo:[0,1] neg_hi:[0,1]
	v_mul_f32_e32 v17, v56, v67
	v_pk_add_f32 v[18:19], v[18:19], v[58:59]
	v_pk_add_f32 v[58:59], v[0:1], v[6:7]
	v_pk_mul_f32 v[138:139], v[18:19], s[18:19] op_sel_hi:[1,0]
	v_pk_fma_f32 v[58:59], v[58:59], 0.5, v[54:55] op_sel_hi:[1,0,1] neg_lo:[1,0,0] neg_hi:[1,0,0]
	v_fma_f32 v17, v66, v36, -v17
	v_pk_fma_f32 v[132:133], v[118:119], s[20:21], v[58:59] op_sel:[1,0,0] op_sel_hi:[0,0,1] neg_lo:[1,0,0] neg_hi:[1,0,0]
	v_pk_fma_f32 v[58:59], v[118:119], s[20:21], v[58:59] op_sel:[1,0,0] op_sel_hi:[0,0,1]
	v_pk_fma_f32 v[58:59], v[134:135], s[16:17], v[58:59] op_sel:[1,0,0] op_sel_hi:[0,0,1] neg_lo:[1,0,0] neg_hi:[1,0,0]
	v_pk_fma_f32 v[142:143], v[134:135], s[16:17], v[132:133] op_sel:[1,0,0] op_sel_hi:[0,0,1]
	v_add_f32_e32 v77, v139, v59
	v_mov_b32_e32 v59, v143
	v_pk_fma_f32 v[58:59], v[18:19], s[18:19], v[58:59] op_sel_hi:[1,0,1]
	v_pk_add_f32 v[0:1], v[0:1], v[2:3] neg_lo:[0,1] neg_hi:[0,1]
	v_pk_mul_f32 v[142:143], v[58:59], v[34:35] op_sel_hi:[1,0]
	v_mul_f32_e32 v34, v108, v69
	v_pk_fma_f32 v[18:19], v[58:59], v[46:47], v[142:143] op_sel:[0,0,1] op_sel_hi:[1,1,0] neg_lo:[0,0,1] neg_hi:[0,0,1]
	v_fmac_f32_e32 v34, v68, v120
	v_mul_f32_e32 v19, v36, v67
	v_fmac_f32_e32 v19, v66, v56
	v_mul_f32_e32 v56, v33, v87
	v_fma_f32 v66, v86, v25, -v56
	v_mul_f32_e32 v67, v25, v87
	v_mul_f32_e32 v25, v63, v75
	v_fma_f32 v68, v74, v48, -v25
	v_mul_f32_e32 v25, v43, v79
	v_fmamk_f32 v36, v93, 0x3f167918, v72
	v_mul_f32_e32 v69, v48, v75
	v_fma_f32 v72, v78, v39, -v25
	v_mul_f32_e32 v25, v70, v81
	v_fmac_f32_e32 v69, v74, v63
	v_mul_f32_e32 v74, v39, v79
	v_fma_f32 v75, v80, v61, -v25
	v_mul_f32_e32 v25, v21, v137
	v_fmamk_f32 v48, v91, 0x3f167918, v76
	v_fmac_f32_e32 v74, v78, v43
	v_fma_f32 v76, v136, v15, -v25
	v_mul_f32_e32 v78, v15, v137
	v_mul_f32_e32 v15, v37, v141
	v_fma_f32 v79, v140, v31, -v15
	v_add_f32_e32 v15, v62, v36
	v_pk_fma_f32 v[142:143], v[58:59], v[46:47], v[142:143] op_sel:[0,0,1] op_sel_hi:[1,0,0]
	v_fmamk_f32 v46, v97, 0x3f167918, v94
	v_fmac_f32_e32 v78, v136, v21
	v_mul_f32_e32 v21, v27, v19
	v_mul_f32_e32 v59, v15, v19
	v_fmac_f32_e32 v67, v86, v33
	v_fma_f32 v58, v15, v17, -v21
	v_fmac_f32_e32 v59, v27, v17
	v_add_f32_e32 v15, v44, v46
	v_mul_f32_e32 v17, v45, v34
	v_fmamk_f32 v63, v101, 0x3f167918, v98
	v_fma_f32 v56, v15, v29, -v17
	v_mul_f32_e32 v57, v15, v34
	v_add_f32_e32 v15, v60, v48
	v_mul_f32_e32 v17, v41, v67
	v_mov_b32_e32 v27, v49
	v_fma_f32 v48, v15, v66, -v17
	v_mul_f32_e32 v49, v15, v67
	v_add_f32_e32 v15, v84, v63
	v_mul_f32_e32 v17, v64, v69
	v_fmac_f32_e32 v57, v45, v29
	v_fma_f32 v44, v15, v68, -v17
	v_mul_f32_e32 v45, v15, v69
	v_add_f32_e32 v15, v22, v20
	v_pk_add_f32 v[20:21], v[2:3], v[4:5]
	v_pk_add_f32 v[2:3], v[6:7], v[4:5] neg_lo:[0,1] neg_hi:[0,1]
	v_pk_fma_f32 v[20:21], v[20:21], 0.5, v[54:55] op_sel_hi:[1,0,1] neg_lo:[1,0,0] neg_hi:[1,0,0]
	v_mul_f32_e32 v61, v61, v81
	v_pk_add_f32 v[2:3], v[0:1], v[2:3]
	v_pk_fma_f32 v[0:1], v[134:135], s[20:21], v[20:21] op_sel:[1,0,0] op_sel_hi:[0,0,1]
	v_pk_fma_f32 v[4:5], v[134:135], s[20:21], v[20:21] op_sel:[1,0,0] op_sel_hi:[0,0,1] neg_lo:[1,0,0] neg_hi:[1,0,0]
	v_pk_mul_f32 v[6:7], v[118:119], s[16:17] op_sel:[1,0] op_sel_hi:[0,0]
	v_fmac_f32_e32 v61, v80, v70
	v_mul_f32_e32 v80, v31, v141
	v_pk_mul_f32 v[2:3], v[2:3], s[18:19] op_sel_hi:[1,0]
	v_add_f32_e32 v20, v6, v0
	v_sub_f32_e32 v21, v5, v7
	v_fmamk_f32 v70, v131, 0x3f167918, v128
	v_fmac_f32_e32 v80, v140, v37
	v_mul_f32_e32 v17, v23, v74
	v_mul_f32_e32 v37, v15, v74
	v_fmamk_f32 v19, v135, 0x3f167918, v132
	v_add_f32_e32 v20, v2, v20
	v_add_f32_e32 v21, v3, v21
	v_fma_f32 v36, v15, v72, -v17
	v_fmac_f32_e32 v37, v23, v72
	v_add_f32_e32 v15, v102, v70
	v_mul_f32_e32 v22, v21, v78
	v_mul_f32_e32 v23, v20, v78
	v_add_f32_e32 v19, v138, v19
	v_mov_b32_e32 v29, v35
	v_mul_f32_e32 v17, v73, v61
	v_mul_f32_e32 v35, v15, v61
	v_fma_f32 v22, v20, v76, -v22
	v_fmac_f32_e32 v23, v21, v76
	v_mul_f32_e32 v20, v77, v80
	v_mul_f32_e32 v21, v19, v80
	v_mov_b32_e32 v25, v65
	v_mov_b32_e32 v33, v71
	;; [unrolled: 1-line block ×3, first 2 shown]
	v_fmac_f32_e32 v49, v41, v66
	v_fmac_f32_e32 v45, v64, v68
	v_mov_b32_e32 v41, v89
	v_mov_b32_e32 v43, v47
	v_fma_f32 v34, v15, v75, -v17
	v_fmac_f32_e32 v35, v73, v75
	v_mov_b32_e32 v31, v105
	v_mov_b32_e32 v15, v123
	;; [unrolled: 1-line block ×3, first 2 shown]
	v_fma_f32 v20, v19, v79, -v20
	v_fmac_f32_e32 v21, v77, v79
	v_mov_b32_e32 v19, v143
	s_cbranch_vccnz .LBB0_20
; %bb.17:
	v_mad_u64_u32 v[46:47], s[0:1], s12, v50, 0
	v_mov_b32_e32 v54, v47
	v_mad_u64_u32 v[54:55], s[0:1], s13, v50, v[54:55]
	v_mov_b32_e32 v47, v54
	;; [unrolled: 2-line block ×3, first 2 shown]
	v_mad_u64_u32 v[60:61], s[0:1], s9, v110, v[60:61]
	s_lshl_b64 s[0:1], s[6:7], 3
	s_add_u32 s0, s14, s0
	s_addc_u32 s1, s15, s1
	v_mov_b32_e32 v55, v60
	v_lshl_add_u64 v[46:47], v[46:47], 3, s[0:1]
	v_lshl_add_u64 v[54:55], v[54:55], 3, v[46:47]
	global_store_dwordx2 v[54:55], v[24:25], off
	v_mad_u64_u32 v[54:55], s[0:1], s8, v115, 0
	v_mov_b32_e32 v60, v55
	v_mad_u64_u32 v[60:61], s[0:1], s9, v115, v[60:61]
	v_mov_b32_e32 v55, v60
	v_lshl_add_u64 v[54:55], v[54:55], 3, v[46:47]
	global_store_dwordx2 v[54:55], v[58:59], off
	v_mad_u64_u32 v[54:55], s[0:1], s8, v116, 0
	v_mov_b32_e32 v60, v55
	v_mad_u64_u32 v[60:61], s[0:1], s9, v116, v[60:61]
	v_mov_b32_e32 v55, v60
	;; [unrolled: 6-line block ×4, first 2 shown]
	v_lshl_add_u64 v[54:55], v[54:55], 3, v[46:47]
	global_store_dwordx2 v[54:55], v[32:33], off
	v_and_b32_e32 v54, 0x1c0, v114
	v_add_u32_e32 v62, v54, v111
	v_mad_u64_u32 v[54:55], s[0:1], s8, v62, 0
	v_mov_b32_e32 v60, v55
	v_mad_u64_u32 v[60:61], s[0:1], s9, v62, v[60:61]
	v_mov_b32_e32 v55, v60
	v_lshl_add_u64 v[54:55], v[54:55], 3, v[46:47]
	v_add_u32_e32 v61, 16, v62
	global_store_dwordx2 v[54:55], v[38:39], off
	v_mad_u64_u32 v[54:55], s[0:1], s8, v61, 0
	v_mov_b32_e32 v60, v55
	v_mad_u64_u32 v[60:61], s[0:1], s9, v61, v[60:61]
	v_mov_b32_e32 v55, v60
	v_lshl_add_u64 v[54:55], v[54:55], 3, v[46:47]
	v_add_u32_e32 v61, 32, v62
	global_store_dwordx2 v[54:55], v[48:49], off
	;; [unrolled: 7-line block ×4, first 2 shown]
	v_mad_u64_u32 v[54:55], s[0:1], s8, v61, 0
	v_mov_b32_e32 v60, v55
	v_mad_u64_u32 v[60:61], s[0:1], s9, v61, v[60:61]
	v_mov_b32_e32 v55, v60
	v_lshl_add_u64 v[54:55], v[54:55], 3, v[46:47]
	global_store_dwordx2 v[54:55], v[42:43], off
	v_and_b32_e32 v54, 0x1c0, v113
	v_add_u32_e32 v62, v54, v51
	v_mad_u64_u32 v[54:55], s[0:1], s8, v62, 0
	v_mov_b32_e32 v60, v55
	v_mad_u64_u32 v[60:61], s[0:1], s9, v62, v[60:61]
	v_mov_b32_e32 v55, v60
	v_lshl_add_u64 v[54:55], v[54:55], 3, v[46:47]
	v_add_u32_e32 v61, 16, v62
	global_store_dwordx2 v[54:55], v[28:29], off
	v_mad_u64_u32 v[54:55], s[0:1], s8, v61, 0
	v_mov_b32_e32 v60, v55
	v_mad_u64_u32 v[60:61], s[0:1], s9, v61, v[60:61]
	v_mov_b32_e32 v55, v60
	v_lshl_add_u64 v[54:55], v[54:55], 3, v[46:47]
	v_add_u32_e32 v61, 32, v62
	global_store_dwordx2 v[54:55], v[36:37], off
	;; [unrolled: 7-line block ×4, first 2 shown]
	v_mad_u64_u32 v[54:55], s[0:1], s8, v61, 0
	v_mov_b32_e32 v60, v55
	v_mad_u64_u32 v[60:61], s[0:1], s9, v61, v[60:61]
	v_mov_b32_e32 v55, v60
	v_lshl_add_u64 v[54:55], v[54:55], 3, v[46:47]
	s_mov_b64 s[2:3], 0
	s_mov_b64 s[0:1], 0
	global_store_dwordx2 v[54:55], v[14:15], off
                                        ; implicit-def: $vgpr54_vgpr55
	s_and_saveexec_b64 s[16:17], s[4:5]
	s_cbranch_execz .LBB0_19
; %bb.18:
	v_mad_u64_u32 v[54:55], s[18:19], s8, v112, 0
	v_mov_b32_e32 v60, v55
	v_mad_u64_u32 v[60:61], s[18:19], s9, v112, v[60:61]
	v_mov_b32_e32 v55, v60
	v_lshl_add_u64 v[54:55], v[54:55], 3, v[46:47]
	v_add_u32_e32 v61, 31, v110
	global_store_dwordx2 v[54:55], v[16:17], off
	v_mad_u64_u32 v[54:55], s[18:19], s8, v61, 0
	v_mov_b32_e32 v60, v55
	v_mad_u64_u32 v[60:61], s[18:19], s9, v61, v[60:61]
	v_mov_b32_e32 v55, v60
	v_lshl_add_u64 v[54:55], v[54:55], 3, v[46:47]
	v_add_u32_e32 v61, 47, v110
	global_store_dwordx2 v[54:55], v[22:23], off
	;; [unrolled: 7-line block ×4, first 2 shown]
	v_mad_u64_u32 v[54:55], s[18:19], s8, v61, 0
	v_mov_b32_e32 v60, v55
	v_mad_u64_u32 v[60:61], s[18:19], s9, v61, v[60:61]
	v_mov_b32_e32 v55, v60
	s_mov_b64 s[0:1], exec
	v_lshl_add_u64 v[54:55], v[54:55], 3, v[46:47]
.LBB0_19:
	s_or_b64 exec, exec, s[16:17]
	s_and_b64 vcc, exec, s[2:3]
	s_cbranch_vccnz .LBB0_21
	s_branch .LBB0_26
.LBB0_20:
	s_mov_b64 s[0:1], 0
                                        ; implicit-def: $vgpr54_vgpr55
	s_cbranch_execz .LBB0_26
.LBB0_21:
	v_cmp_gt_u64_e32 vcc, s[10:11], v[52:53]
                                        ; implicit-def: $vgpr54_vgpr55
	s_and_saveexec_b64 s[2:3], vcc
	s_cbranch_execz .LBB0_25
; %bb.22:
	v_mad_u64_u32 v[46:47], s[10:11], s12, v50, 0
	v_mov_b32_e32 v52, v47
	v_mad_u64_u32 v[52:53], s[10:11], s13, v50, v[52:53]
	v_mov_b32_e32 v47, v52
	v_mad_u64_u32 v[52:53], s[10:11], s8, v110, 0
	s_lshl_b64 s[6:7], s[6:7], 3
	v_mov_b32_e32 v50, v53
	s_add_u32 s6, s14, s6
	v_mad_u64_u32 v[54:55], s[10:11], s9, v110, v[50:51]
	s_addc_u32 s7, s15, s7
	v_mov_b32_e32 v53, v54
	v_lshl_add_u64 v[46:47], v[46:47], 3, s[6:7]
	v_lshl_add_u64 v[52:53], v[52:53], 3, v[46:47]
	global_store_dwordx2 v[52:53], v[24:25], off
	v_mad_u64_u32 v[24:25], s[6:7], s8, v115, 0
	v_mov_b32_e32 v50, v25
	v_mad_u64_u32 v[52:53], s[6:7], s9, v115, v[50:51]
	v_mov_b32_e32 v25, v52
	v_lshl_add_u64 v[24:25], v[24:25], 3, v[46:47]
	global_store_dwordx2 v[24:25], v[58:59], off
	v_mad_u64_u32 v[24:25], s[6:7], s8, v116, 0
	v_mov_b32_e32 v50, v25
	v_mad_u64_u32 v[52:53], s[6:7], s9, v116, v[50:51]
	v_mov_b32_e32 v25, v52
	;; [unrolled: 6-line block ×4, first 2 shown]
	v_lshl_add_u64 v[24:25], v[24:25], 3, v[46:47]
	global_store_dwordx2 v[24:25], v[32:33], off
	v_and_b32_e32 v24, 0x1c0, v114
	v_add_u32_e32 v32, v24, v111
	v_mad_u64_u32 v[24:25], s[6:7], s8, v32, 0
	v_mov_b32_e32 v26, v25
	v_mad_u64_u32 v[26:27], s[6:7], s9, v32, v[26:27]
	v_mov_b32_e32 v25, v26
	v_lshl_add_u64 v[24:25], v[24:25], 3, v[46:47]
	v_add_u32_e32 v27, 16, v32
	global_store_dwordx2 v[24:25], v[38:39], off
	v_mad_u64_u32 v[24:25], s[6:7], s8, v27, 0
	v_mov_b32_e32 v26, v25
	v_mad_u64_u32 v[26:27], s[6:7], s9, v27, v[26:27]
	v_mov_b32_e32 v25, v26
	v_lshl_add_u64 v[24:25], v[24:25], 3, v[46:47]
	v_add_u32_e32 v27, 32, v32
	global_store_dwordx2 v[24:25], v[48:49], off
	;; [unrolled: 7-line block ×4, first 2 shown]
	v_mad_u64_u32 v[24:25], s[6:7], s8, v27, 0
	v_mov_b32_e32 v26, v25
	v_mad_u64_u32 v[26:27], s[6:7], s9, v27, v[26:27]
	v_mov_b32_e32 v25, v26
	v_lshl_add_u64 v[24:25], v[24:25], 3, v[46:47]
	global_store_dwordx2 v[24:25], v[42:43], off
	v_and_b32_e32 v24, 0x1c0, v113
	v_add_u32_e32 v32, v24, v51
	v_mad_u64_u32 v[24:25], s[6:7], s8, v32, 0
	v_mov_b32_e32 v26, v25
	v_mad_u64_u32 v[26:27], s[6:7], s9, v32, v[26:27]
	v_mov_b32_e32 v25, v26
	v_lshl_add_u64 v[24:25], v[24:25], 3, v[46:47]
	v_add_u32_e32 v27, 16, v32
	global_store_dwordx2 v[24:25], v[28:29], off
	v_mad_u64_u32 v[24:25], s[6:7], s8, v27, 0
	v_mov_b32_e32 v26, v25
	v_mad_u64_u32 v[26:27], s[6:7], s9, v27, v[26:27]
	v_mov_b32_e32 v25, v26
	v_lshl_add_u64 v[24:25], v[24:25], 3, v[46:47]
	v_add_u32_e32 v27, 32, v32
	global_store_dwordx2 v[24:25], v[36:37], off
	;; [unrolled: 7-line block ×4, first 2 shown]
	v_mad_u64_u32 v[24:25], s[6:7], s8, v27, 0
	v_mov_b32_e32 v26, v25
	v_mad_u64_u32 v[26:27], s[6:7], s9, v27, v[26:27]
	v_mov_b32_e32 v25, v26
	v_lshl_add_u64 v[24:25], v[24:25], 3, v[46:47]
	s_mov_b64 s[10:11], s[0:1]
	global_store_dwordx2 v[24:25], v[14:15], off
                                        ; implicit-def: $vgpr54_vgpr55
	s_and_saveexec_b64 s[6:7], s[4:5]
	s_cbranch_execz .LBB0_24
; %bb.23:
	v_mov_b32_e32 v14, 0x78
	v_mad_u64_u32 v[14:15], s[4:5], s8, v14, v[46:47]
	s_mul_i32 s4, s9, 0x78
	s_nop 0
	v_add_u32_e32 v15, s4, v15
	global_store_dwordx2 v[14:15], v[16:17], off
	v_mov_b32_e32 v14, 0xf8
	v_mad_u64_u32 v[14:15], s[4:5], s8, v14, v[46:47]
	s_mul_i32 s4, s9, 0xf8
	s_nop 0
	v_add_u32_e32 v15, s4, v15
	global_store_dwordx2 v[14:15], v[22:23], off
	;; [unrolled: 6-line block ×4, first 2 shown]
	v_mov_b32_e32 v14, 0x278
	v_mad_u64_u32 v[54:55], s[4:5], s8, v14, v[46:47]
	s_mul_i32 s4, s9, 0x278
	s_nop 0
	v_add_u32_e32 v55, s4, v55
	s_or_b64 s[10:11], s[0:1], exec
.LBB0_24:
	s_or_b64 exec, exec, s[6:7]
	s_andn2_b64 s[0:1], s[0:1], exec
	s_and_b64 s[4:5], s[10:11], exec
	s_or_b64 s[0:1], s[0:1], s[4:5]
.LBB0_25:
	s_or_b64 exec, exec, s[2:3]
.LBB0_26:
	s_and_saveexec_b64 s[2:3], s[0:1]
	s_cbranch_execnz .LBB0_28
; %bb.27:
	s_endpgm
.LBB0_28:
	s_waitcnt vmcnt(1)
	v_mul_f32_e32 v14, v8, v12
	v_fma_f32 v14, -v9, v13, v14
	v_pk_mul_f32 v[8:9], v[8:9], v[12:13] op_sel:[1,0] op_sel_hi:[0,1]
	v_pk_add_f32 v[4:5], v[4:5], v[6:7] neg_lo:[0,1] neg_hi:[0,1]
	v_pk_add_f32 v[0:1], v[0:1], v[6:7]
	v_add_f32_e32 v9, v8, v9
	s_waitcnt vmcnt(0)
	v_mul_f32_e32 v12, v14, v11
	v_mov_b32_e32 v5, v1
	v_mul_f32_e32 v8, v9, v11
	v_fmac_f32_e32 v12, v10, v9
	v_pk_add_f32 v[0:1], v[2:3], v[4:5]
	v_fma_f32 v8, v10, v14, -v8
	v_pk_mul_f32 v[2:3], v[0:1], v[12:13] op_sel_hi:[1,0]
	s_nop 0
	v_pk_fma_f32 v[4:5], v[0:1], v[8:9], v[2:3] op_sel:[0,0,1] op_sel_hi:[1,1,0] neg_lo:[0,0,1] neg_hi:[0,0,1]
	v_pk_fma_f32 v[0:1], v[0:1], v[8:9], v[2:3] op_sel:[0,0,1] op_sel_hi:[1,0,0]
	s_nop 0
	v_mov_b32_e32 v5, v1
	global_store_dwordx2 v[54:55], v[4:5], off
	s_endpgm
	.section	.rodata,"a",@progbits
	.p2align	6, 0x0
	.amdhsa_kernel fft_rtc_fwd_len80_factors_2_2_4_5_wgs_125_tpt_5_dim3_sp_ip_CI_sbcc_twdbase8_3step_dirReg
		.amdhsa_group_segment_fixed_size 0
		.amdhsa_private_segment_fixed_size 0
		.amdhsa_kernarg_size 88
		.amdhsa_user_sgpr_count 2
		.amdhsa_user_sgpr_dispatch_ptr 0
		.amdhsa_user_sgpr_queue_ptr 0
		.amdhsa_user_sgpr_kernarg_segment_ptr 1
		.amdhsa_user_sgpr_dispatch_id 0
		.amdhsa_user_sgpr_kernarg_preload_length 0
		.amdhsa_user_sgpr_kernarg_preload_offset 0
		.amdhsa_user_sgpr_private_segment_size 0
		.amdhsa_uses_dynamic_stack 0
		.amdhsa_enable_private_segment 0
		.amdhsa_system_sgpr_workgroup_id_x 1
		.amdhsa_system_sgpr_workgroup_id_y 0
		.amdhsa_system_sgpr_workgroup_id_z 0
		.amdhsa_system_sgpr_workgroup_info 0
		.amdhsa_system_vgpr_workitem_id 0
		.amdhsa_next_free_vgpr 144
		.amdhsa_next_free_sgpr 27
		.amdhsa_accum_offset 144
		.amdhsa_reserve_vcc 1
		.amdhsa_float_round_mode_32 0
		.amdhsa_float_round_mode_16_64 0
		.amdhsa_float_denorm_mode_32 3
		.amdhsa_float_denorm_mode_16_64 3
		.amdhsa_dx10_clamp 1
		.amdhsa_ieee_mode 1
		.amdhsa_fp16_overflow 0
		.amdhsa_tg_split 0
		.amdhsa_exception_fp_ieee_invalid_op 0
		.amdhsa_exception_fp_denorm_src 0
		.amdhsa_exception_fp_ieee_div_zero 0
		.amdhsa_exception_fp_ieee_overflow 0
		.amdhsa_exception_fp_ieee_underflow 0
		.amdhsa_exception_fp_ieee_inexact 0
		.amdhsa_exception_int_div_zero 0
	.end_amdhsa_kernel
	.text
.Lfunc_end0:
	.size	fft_rtc_fwd_len80_factors_2_2_4_5_wgs_125_tpt_5_dim3_sp_ip_CI_sbcc_twdbase8_3step_dirReg, .Lfunc_end0-fft_rtc_fwd_len80_factors_2_2_4_5_wgs_125_tpt_5_dim3_sp_ip_CI_sbcc_twdbase8_3step_dirReg
                                        ; -- End function
	.section	.AMDGPU.csdata,"",@progbits
; Kernel info:
; codeLenInByte = 11792
; NumSgprs: 33
; NumVgprs: 144
; NumAgprs: 0
; TotalNumVgprs: 144
; ScratchSize: 0
; MemoryBound: 0
; FloatMode: 240
; IeeeMode: 1
; LDSByteSize: 0 bytes/workgroup (compile time only)
; SGPRBlocks: 4
; VGPRBlocks: 17
; NumSGPRsForWavesPerEU: 33
; NumVGPRsForWavesPerEU: 144
; AccumOffset: 144
; Occupancy: 3
; WaveLimiterHint : 1
; COMPUTE_PGM_RSRC2:SCRATCH_EN: 0
; COMPUTE_PGM_RSRC2:USER_SGPR: 2
; COMPUTE_PGM_RSRC2:TRAP_HANDLER: 0
; COMPUTE_PGM_RSRC2:TGID_X_EN: 1
; COMPUTE_PGM_RSRC2:TGID_Y_EN: 0
; COMPUTE_PGM_RSRC2:TGID_Z_EN: 0
; COMPUTE_PGM_RSRC2:TIDIG_COMP_CNT: 0
; COMPUTE_PGM_RSRC3_GFX90A:ACCUM_OFFSET: 35
; COMPUTE_PGM_RSRC3_GFX90A:TG_SPLIT: 0
	.text
	.p2alignl 6, 3212836864
	.fill 256, 4, 3212836864
	.type	__hip_cuid_f8f4ca788cc9f32f,@object ; @__hip_cuid_f8f4ca788cc9f32f
	.section	.bss,"aw",@nobits
	.globl	__hip_cuid_f8f4ca788cc9f32f
__hip_cuid_f8f4ca788cc9f32f:
	.byte	0                               ; 0x0
	.size	__hip_cuid_f8f4ca788cc9f32f, 1

	.ident	"AMD clang version 19.0.0git (https://github.com/RadeonOpenCompute/llvm-project roc-6.4.0 25133 c7fe45cf4b819c5991fe208aaa96edf142730f1d)"
	.section	".note.GNU-stack","",@progbits
	.addrsig
	.addrsig_sym __hip_cuid_f8f4ca788cc9f32f
	.amdgpu_metadata
---
amdhsa.kernels:
  - .agpr_count:     0
    .args:
      - .actual_access:  read_only
        .address_space:  global
        .offset:         0
        .size:           8
        .value_kind:     global_buffer
      - .address_space:  global
        .offset:         8
        .size:           8
        .value_kind:     global_buffer
      - .actual_access:  read_only
        .address_space:  global
        .offset:         16
        .size:           8
        .value_kind:     global_buffer
      - .actual_access:  read_only
        .address_space:  global
        .offset:         24
        .size:           8
        .value_kind:     global_buffer
      - .offset:         32
        .size:           8
        .value_kind:     by_value
      - .actual_access:  read_only
        .address_space:  global
        .offset:         40
        .size:           8
        .value_kind:     global_buffer
      - .actual_access:  read_only
        .address_space:  global
        .offset:         48
        .size:           8
        .value_kind:     global_buffer
      - .offset:         56
        .size:           4
        .value_kind:     by_value
      - .actual_access:  read_only
        .address_space:  global
        .offset:         64
        .size:           8
        .value_kind:     global_buffer
      - .actual_access:  read_only
        .address_space:  global
        .offset:         72
        .size:           8
        .value_kind:     global_buffer
      - .address_space:  global
        .offset:         80
        .size:           8
        .value_kind:     global_buffer
    .group_segment_fixed_size: 0
    .kernarg_segment_align: 8
    .kernarg_segment_size: 88
    .language:       OpenCL C
    .language_version:
      - 2
      - 0
    .max_flat_workgroup_size: 125
    .name:           fft_rtc_fwd_len80_factors_2_2_4_5_wgs_125_tpt_5_dim3_sp_ip_CI_sbcc_twdbase8_3step_dirReg
    .private_segment_fixed_size: 0
    .sgpr_count:     33
    .sgpr_spill_count: 0
    .symbol:         fft_rtc_fwd_len80_factors_2_2_4_5_wgs_125_tpt_5_dim3_sp_ip_CI_sbcc_twdbase8_3step_dirReg.kd
    .uniform_work_group_size: 1
    .uses_dynamic_stack: false
    .vgpr_count:     144
    .vgpr_spill_count: 0
    .wavefront_size: 64
amdhsa.target:   amdgcn-amd-amdhsa--gfx950
amdhsa.version:
  - 1
  - 2
...

	.end_amdgpu_metadata
